;; amdgpu-corpus repo=ROCm/rocFFT kind=compiled arch=gfx1030 opt=O3
	.text
	.amdgcn_target "amdgcn-amd-amdhsa--gfx1030"
	.amdhsa_code_object_version 6
	.protected	fft_rtc_back_len3200_factors_10_10_4_4_2_wgs_160_tpt_160_halfLds_dp_ip_CI_unitstride_sbrr_C2R_dirReg ; -- Begin function fft_rtc_back_len3200_factors_10_10_4_4_2_wgs_160_tpt_160_halfLds_dp_ip_CI_unitstride_sbrr_C2R_dirReg
	.globl	fft_rtc_back_len3200_factors_10_10_4_4_2_wgs_160_tpt_160_halfLds_dp_ip_CI_unitstride_sbrr_C2R_dirReg
	.p2align	8
	.type	fft_rtc_back_len3200_factors_10_10_4_4_2_wgs_160_tpt_160_halfLds_dp_ip_CI_unitstride_sbrr_C2R_dirReg,@function
fft_rtc_back_len3200_factors_10_10_4_4_2_wgs_160_tpt_160_halfLds_dp_ip_CI_unitstride_sbrr_C2R_dirReg: ; @fft_rtc_back_len3200_factors_10_10_4_4_2_wgs_160_tpt_160_halfLds_dp_ip_CI_unitstride_sbrr_C2R_dirReg
; %bb.0:
	s_clause 0x2
	s_load_dwordx4 s[8:11], s[4:5], 0x0
	s_load_dwordx2 s[2:3], s[4:5], 0x50
	s_load_dwordx2 s[12:13], s[4:5], 0x18
	v_mul_u32_u24_e32 v1, 0x19a, v0
	v_mov_b32_e32 v3, 0
	v_add_nc_u32_sdwa v5, s6, v1 dst_sel:DWORD dst_unused:UNUSED_PAD src0_sel:DWORD src1_sel:WORD_1
	v_mov_b32_e32 v1, 0
	v_mov_b32_e32 v6, v3
	v_mov_b32_e32 v2, 0
	s_waitcnt lgkmcnt(0)
	v_cmp_lt_u64_e64 s0, s[10:11], 2
	s_and_b32 vcc_lo, exec_lo, s0
	s_cbranch_vccnz .LBB0_8
; %bb.1:
	s_load_dwordx2 s[0:1], s[4:5], 0x10
	v_mov_b32_e32 v1, 0
	s_add_u32 s6, s12, 8
	v_mov_b32_e32 v2, 0
	s_addc_u32 s7, s13, 0
	s_mov_b64 s[16:17], 1
	s_waitcnt lgkmcnt(0)
	s_add_u32 s14, s0, 8
	s_addc_u32 s15, s1, 0
.LBB0_2:                                ; =>This Inner Loop Header: Depth=1
	s_load_dwordx2 s[18:19], s[14:15], 0x0
                                        ; implicit-def: $vgpr7_vgpr8
	s_mov_b32 s0, exec_lo
	s_waitcnt lgkmcnt(0)
	v_or_b32_e32 v4, s19, v6
	v_cmpx_ne_u64_e32 0, v[3:4]
	s_xor_b32 s1, exec_lo, s0
	s_cbranch_execz .LBB0_4
; %bb.3:                                ;   in Loop: Header=BB0_2 Depth=1
	v_cvt_f32_u32_e32 v4, s18
	v_cvt_f32_u32_e32 v7, s19
	s_sub_u32 s0, 0, s18
	s_subb_u32 s20, 0, s19
	v_fmac_f32_e32 v4, 0x4f800000, v7
	v_rcp_f32_e32 v4, v4
	v_mul_f32_e32 v4, 0x5f7ffffc, v4
	v_mul_f32_e32 v7, 0x2f800000, v4
	v_trunc_f32_e32 v7, v7
	v_fmac_f32_e32 v4, 0xcf800000, v7
	v_cvt_u32_f32_e32 v7, v7
	v_cvt_u32_f32_e32 v4, v4
	v_mul_lo_u32 v8, s0, v7
	v_mul_hi_u32 v9, s0, v4
	v_mul_lo_u32 v10, s20, v4
	v_add_nc_u32_e32 v8, v9, v8
	v_mul_lo_u32 v9, s0, v4
	v_add_nc_u32_e32 v8, v8, v10
	v_mul_hi_u32 v10, v4, v9
	v_mul_lo_u32 v11, v4, v8
	v_mul_hi_u32 v12, v4, v8
	v_mul_hi_u32 v13, v7, v9
	v_mul_lo_u32 v9, v7, v9
	v_mul_hi_u32 v14, v7, v8
	v_mul_lo_u32 v8, v7, v8
	v_add_co_u32 v10, vcc_lo, v10, v11
	v_add_co_ci_u32_e32 v11, vcc_lo, 0, v12, vcc_lo
	v_add_co_u32 v9, vcc_lo, v10, v9
	v_add_co_ci_u32_e32 v9, vcc_lo, v11, v13, vcc_lo
	v_add_co_ci_u32_e32 v10, vcc_lo, 0, v14, vcc_lo
	v_add_co_u32 v8, vcc_lo, v9, v8
	v_add_co_ci_u32_e32 v9, vcc_lo, 0, v10, vcc_lo
	v_add_co_u32 v4, vcc_lo, v4, v8
	v_add_co_ci_u32_e32 v7, vcc_lo, v7, v9, vcc_lo
	v_mul_hi_u32 v8, s0, v4
	v_mul_lo_u32 v10, s20, v4
	v_mul_lo_u32 v9, s0, v7
	v_add_nc_u32_e32 v8, v8, v9
	v_mul_lo_u32 v9, s0, v4
	v_add_nc_u32_e32 v8, v8, v10
	v_mul_hi_u32 v10, v4, v9
	v_mul_lo_u32 v11, v4, v8
	v_mul_hi_u32 v12, v4, v8
	v_mul_hi_u32 v13, v7, v9
	v_mul_lo_u32 v9, v7, v9
	v_mul_hi_u32 v14, v7, v8
	v_mul_lo_u32 v8, v7, v8
	v_add_co_u32 v10, vcc_lo, v10, v11
	v_add_co_ci_u32_e32 v11, vcc_lo, 0, v12, vcc_lo
	v_add_co_u32 v9, vcc_lo, v10, v9
	v_add_co_ci_u32_e32 v9, vcc_lo, v11, v13, vcc_lo
	v_add_co_ci_u32_e32 v10, vcc_lo, 0, v14, vcc_lo
	v_add_co_u32 v8, vcc_lo, v9, v8
	v_add_co_ci_u32_e32 v9, vcc_lo, 0, v10, vcc_lo
	v_add_co_u32 v4, vcc_lo, v4, v8
	v_add_co_ci_u32_e32 v11, vcc_lo, v7, v9, vcc_lo
	v_mul_hi_u32 v13, v5, v4
	v_mad_u64_u32 v[9:10], null, v6, v4, 0
	v_mad_u64_u32 v[7:8], null, v5, v11, 0
	;; [unrolled: 1-line block ×3, first 2 shown]
	v_add_co_u32 v4, vcc_lo, v13, v7
	v_add_co_ci_u32_e32 v7, vcc_lo, 0, v8, vcc_lo
	v_add_co_u32 v4, vcc_lo, v4, v9
	v_add_co_ci_u32_e32 v4, vcc_lo, v7, v10, vcc_lo
	v_add_co_ci_u32_e32 v7, vcc_lo, 0, v12, vcc_lo
	v_add_co_u32 v4, vcc_lo, v4, v11
	v_add_co_ci_u32_e32 v9, vcc_lo, 0, v7, vcc_lo
	v_mul_lo_u32 v10, s19, v4
	v_mad_u64_u32 v[7:8], null, s18, v4, 0
	v_mul_lo_u32 v11, s18, v9
	v_sub_co_u32 v7, vcc_lo, v5, v7
	v_add3_u32 v8, v8, v11, v10
	v_sub_nc_u32_e32 v10, v6, v8
	v_subrev_co_ci_u32_e64 v10, s0, s19, v10, vcc_lo
	v_add_co_u32 v11, s0, v4, 2
	v_add_co_ci_u32_e64 v12, s0, 0, v9, s0
	v_sub_co_u32 v13, s0, v7, s18
	v_sub_co_ci_u32_e32 v8, vcc_lo, v6, v8, vcc_lo
	v_subrev_co_ci_u32_e64 v10, s0, 0, v10, s0
	v_cmp_le_u32_e32 vcc_lo, s18, v13
	v_cmp_eq_u32_e64 s0, s19, v8
	v_cndmask_b32_e64 v13, 0, -1, vcc_lo
	v_cmp_le_u32_e32 vcc_lo, s19, v10
	v_cndmask_b32_e64 v14, 0, -1, vcc_lo
	v_cmp_le_u32_e32 vcc_lo, s18, v7
	;; [unrolled: 2-line block ×3, first 2 shown]
	v_cndmask_b32_e64 v15, 0, -1, vcc_lo
	v_cmp_eq_u32_e32 vcc_lo, s19, v10
	v_cndmask_b32_e64 v7, v15, v7, s0
	v_cndmask_b32_e32 v10, v14, v13, vcc_lo
	v_add_co_u32 v13, vcc_lo, v4, 1
	v_add_co_ci_u32_e32 v14, vcc_lo, 0, v9, vcc_lo
	v_cmp_ne_u32_e32 vcc_lo, 0, v10
	v_cndmask_b32_e32 v8, v14, v12, vcc_lo
	v_cndmask_b32_e32 v10, v13, v11, vcc_lo
	v_cmp_ne_u32_e32 vcc_lo, 0, v7
	v_cndmask_b32_e32 v8, v9, v8, vcc_lo
	v_cndmask_b32_e32 v7, v4, v10, vcc_lo
.LBB0_4:                                ;   in Loop: Header=BB0_2 Depth=1
	s_andn2_saveexec_b32 s0, s1
	s_cbranch_execz .LBB0_6
; %bb.5:                                ;   in Loop: Header=BB0_2 Depth=1
	v_cvt_f32_u32_e32 v4, s18
	s_sub_i32 s1, 0, s18
	v_rcp_iflag_f32_e32 v4, v4
	v_mul_f32_e32 v4, 0x4f7ffffe, v4
	v_cvt_u32_f32_e32 v4, v4
	v_mul_lo_u32 v7, s1, v4
	v_mul_hi_u32 v7, v4, v7
	v_add_nc_u32_e32 v4, v4, v7
	v_mul_hi_u32 v4, v5, v4
	v_mul_lo_u32 v7, v4, s18
	v_add_nc_u32_e32 v8, 1, v4
	v_sub_nc_u32_e32 v7, v5, v7
	v_subrev_nc_u32_e32 v9, s18, v7
	v_cmp_le_u32_e32 vcc_lo, s18, v7
	v_cndmask_b32_e32 v7, v7, v9, vcc_lo
	v_cndmask_b32_e32 v4, v4, v8, vcc_lo
	v_cmp_le_u32_e32 vcc_lo, s18, v7
	v_add_nc_u32_e32 v8, 1, v4
	v_cndmask_b32_e32 v7, v4, v8, vcc_lo
	v_mov_b32_e32 v8, v3
.LBB0_6:                                ;   in Loop: Header=BB0_2 Depth=1
	s_or_b32 exec_lo, exec_lo, s0
	s_load_dwordx2 s[0:1], s[6:7], 0x0
	v_mul_lo_u32 v4, v8, s18
	v_mul_lo_u32 v11, v7, s19
	v_mad_u64_u32 v[9:10], null, v7, s18, 0
	s_add_u32 s16, s16, 1
	s_addc_u32 s17, s17, 0
	s_add_u32 s6, s6, 8
	s_addc_u32 s7, s7, 0
	;; [unrolled: 2-line block ×3, first 2 shown]
	v_add3_u32 v4, v10, v11, v4
	v_sub_co_u32 v5, vcc_lo, v5, v9
	v_sub_co_ci_u32_e32 v4, vcc_lo, v6, v4, vcc_lo
	s_waitcnt lgkmcnt(0)
	v_mul_lo_u32 v6, s1, v5
	v_mul_lo_u32 v4, s0, v4
	v_mad_u64_u32 v[1:2], null, s0, v5, v[1:2]
	v_cmp_ge_u64_e64 s0, s[16:17], s[10:11]
	s_and_b32 vcc_lo, exec_lo, s0
	v_add3_u32 v2, v6, v2, v4
	s_cbranch_vccnz .LBB0_9
; %bb.7:                                ;   in Loop: Header=BB0_2 Depth=1
	v_mov_b32_e32 v5, v7
	v_mov_b32_e32 v6, v8
	s_branch .LBB0_2
.LBB0_8:
	v_mov_b32_e32 v8, v6
	v_mov_b32_e32 v7, v5
.LBB0_9:
	s_lshl_b64 s[0:1], s[10:11], 3
	v_mul_hi_u32 v3, 0x199999a, v0
	s_add_u32 s0, s12, s0
	s_addc_u32 s1, s13, s1
	s_load_dwordx2 s[0:1], s[0:1], 0x0
	s_load_dwordx2 s[4:5], s[4:5], 0x20
	v_mul_u32_u24_e32 v3, 0xa0, v3
	s_waitcnt lgkmcnt(0)
	v_mul_lo_u32 v4, s0, v8
	v_mul_lo_u32 v5, s1, v7
	v_mad_u64_u32 v[1:2], null, s0, v7, v[1:2]
	v_cmp_gt_u64_e32 vcc_lo, s[4:5], v[7:8]
	v_add3_u32 v2, v5, v2, v4
	v_sub_nc_u32_e32 v4, v0, v3
	v_mov_b32_e32 v5, 0
	v_lshlrev_b64 v[86:87], 4, v[1:2]
	v_mov_b32_e32 v84, v4
	s_and_saveexec_b32 s1, vcc_lo
	s_cbranch_execz .LBB0_13
; %bb.10:
	v_lshlrev_b64 v[0:1], 4, v[4:5]
	v_add_co_u32 v2, s0, s2, v86
	v_add_co_ci_u32_e64 v3, s0, s3, v87, s0
	v_or_b32_e32 v30, 0x500, v4
	v_add_co_u32 v0, s0, v2, v0
	v_add_co_ci_u32_e64 v1, s0, v3, v1, s0
	v_mov_b32_e32 v31, v5
	v_add_co_u32 v10, s0, 0x800, v0
	v_add_co_ci_u32_e64 v11, s0, 0, v1, s0
	v_add_co_u32 v14, s0, 0x1000, v0
	v_add_co_ci_u32_e64 v15, s0, 0, v1, s0
	v_add_co_u32 v18, s0, 0x1800, v0
	v_add_co_ci_u32_e64 v19, s0, 0, v1, s0
	v_add_co_u32 v22, s0, 0x2800, v0
	v_add_co_ci_u32_e64 v23, s0, 0, v1, s0
	v_add_co_u32 v26, s0, 0x3000, v0
	v_add_co_ci_u32_e64 v27, s0, 0, v1, s0
	v_add_co_u32 v34, s0, 0x3800, v0
	v_lshlrev_b64 v[30:31], 4, v[30:31]
	v_add_co_ci_u32_e64 v35, s0, 0, v1, s0
	v_add_co_u32 v36, s0, 0x4000, v0
	v_add_co_ci_u32_e64 v37, s0, 0, v1, s0
	v_add_co_u32 v38, s0, v2, v30
	;; [unrolled: 2-line block ×6, first 2 shown]
	v_or_b32_e32 v32, 0xa00, v4
	v_mov_b32_e32 v33, v5
	v_add_co_ci_u32_e64 v55, s0, 0, v1, s0
	v_add_co_u32 v58, s0, 0x8000, v0
	v_add_co_ci_u32_e64 v59, s0, 0, v1, s0
	v_lshlrev_b64 v[32:33], 4, v[32:33]
	v_add_co_u32 v62, s0, 0x8800, v0
	v_add_co_ci_u32_e64 v63, s0, 0, v1, s0
	v_add_co_u32 v66, s0, 0x9000, v0
	v_add_co_ci_u32_e64 v67, s0, 0, v1, s0
	;; [unrolled: 2-line block ×5, first 2 shown]
	s_clause 0x3
	global_load_dwordx4 v[6:9], v[0:1], off
	global_load_dwordx4 v[10:13], v[10:11], off offset:512
	global_load_dwordx4 v[14:17], v[14:15], off offset:1024
	;; [unrolled: 1-line block ×3, first 2 shown]
	v_add_co_u32 v0, s0, 0xb800, v0
	s_clause 0x1
	global_load_dwordx4 v[22:25], v[22:23], off
	global_load_dwordx4 v[26:29], v[26:27], off offset:512
	v_add_co_ci_u32_e64 v1, s0, 0, v1, s0
	s_clause 0xd
	global_load_dwordx4 v[30:33], v[34:35], off offset:1024
	global_load_dwordx4 v[34:37], v[36:37], off offset:1536
	global_load_dwordx4 v[38:41], v[38:39], off
	global_load_dwordx4 v[42:45], v[42:43], off offset:512
	global_load_dwordx4 v[46:49], v[46:47], off offset:1024
	global_load_dwordx4 v[50:53], v[50:51], off offset:1536
	global_load_dwordx4 v[54:57], v[54:55], off
	global_load_dwordx4 v[58:61], v[58:59], off offset:512
	;; [unrolled: 4-line block ×3, first 2 shown]
	global_load_dwordx4 v[78:81], v[78:79], off offset:1024
	global_load_dwordx4 v[82:85], v[0:1], off offset:1536
	v_mov_b32_e32 v0, v4
	v_lshl_add_u32 v88, v4, 4, 0
	v_cmp_eq_u32_e64 s0, 0x9f, v4
	v_mov_b32_e32 v1, v5
	s_waitcnt vmcnt(19)
	ds_write_b128 v88, v[6:9]
	s_waitcnt vmcnt(18)
	ds_write_b128 v88, v[10:13] offset:2560
	s_waitcnt vmcnt(17)
	ds_write_b128 v88, v[14:17] offset:5120
	;; [unrolled: 2-line block ×19, first 2 shown]
	s_and_saveexec_b32 s4, s0
	s_cbranch_execz .LBB0_12
; %bb.11:
	v_add_co_u32 v0, s0, 0xc800, v2
	v_add_co_ci_u32_e64 v1, s0, 0, v3, s0
	v_mov_b32_e32 v2, 0
	v_mov_b32_e32 v4, 0x9f
	global_load_dwordx4 v[5:8], v[0:1], off
	v_mov_b32_e32 v0, 0x9f
	v_mov_b32_e32 v1, 0
	s_waitcnt vmcnt(0)
	ds_write_b128 v2, v[5:8] offset:51200
.LBB0_12:
	s_or_b32 exec_lo, exec_lo, s4
	v_mov_b32_e32 v84, v4
	v_mov_b32_e32 v5, v1
	;; [unrolled: 1-line block ×3, first 2 shown]
.LBB0_13:
	s_or_b32 exec_lo, exec_lo, s1
	v_lshlrev_b32_e32 v0, 4, v84
	s_waitcnt lgkmcnt(0)
	s_barrier
	buffer_gl0_inv
	v_lshlrev_b64 v[92:93], 4, v[4:5]
	v_add_nc_u32_e32 v85, 0, v0
	v_sub_nc_u32_e32 v10, 0, v0
	s_add_u32 s1, s8, 0xc760
	s_addc_u32 s4, s9, 0
	s_mov_b32 s5, exec_lo
	ds_read_b64 v[6:7], v85
	ds_read_b64 v[8:9], v10 offset:51200
	s_waitcnt lgkmcnt(0)
	v_add_f64 v[0:1], v[6:7], v[8:9]
	v_add_f64 v[2:3], v[6:7], -v[8:9]
	v_cmpx_ne_u32_e32 0, v84
	s_xor_b32 s5, exec_lo, s5
	s_cbranch_execz .LBB0_15
; %bb.14:
	v_add_co_u32 v0, s0, s1, v92
	v_add_co_ci_u32_e64 v1, s0, s4, v93, s0
	v_add_f64 v[13:14], v[6:7], v[8:9]
	v_add_f64 v[8:9], v[6:7], -v[8:9]
	global_load_dwordx4 v[2:5], v[0:1], off
	ds_read_b64 v[0:1], v10 offset:51208
	ds_read_b64 v[11:12], v85 offset:8
	s_waitcnt lgkmcnt(0)
	v_add_f64 v[6:7], v[0:1], v[11:12]
	v_add_f64 v[0:1], v[11:12], -v[0:1]
	s_waitcnt vmcnt(0)
	v_fma_f64 v[11:12], v[8:9], v[4:5], v[13:14]
	v_fma_f64 v[13:14], -v[8:9], v[4:5], v[13:14]
	v_fma_f64 v[15:16], v[6:7], v[4:5], -v[0:1]
	v_fma_f64 v[17:18], v[6:7], v[4:5], v[0:1]
	v_fma_f64 v[0:1], -v[6:7], v[2:3], v[11:12]
	v_fma_f64 v[4:5], v[6:7], v[2:3], v[13:14]
	v_fma_f64 v[6:7], v[8:9], v[2:3], v[15:16]
	;; [unrolled: 1-line block ×3, first 2 shown]
	ds_write_b128 v10, v[4:7] offset:51200
.LBB0_15:
	s_andn2_saveexec_b32 s0, s5
	s_cbranch_execz .LBB0_17
; %bb.16:
	v_mov_b32_e32 v8, 0
	ds_read_b128 v[4:7], v8 offset:25600
	s_waitcnt lgkmcnt(0)
	v_add_f64 v[4:5], v[4:5], v[4:5]
	v_mul_f64 v[6:7], v[6:7], -2.0
	ds_write_b128 v8, v[4:7] offset:25600
.LBB0_17:
	s_or_b32 exec_lo, exec_lo, s0
	v_add_nc_u32_e32 v88, 0xa0, v84
	v_mov_b32_e32 v89, 0
	v_add_nc_u32_e32 v110, 0x140, v84
	ds_write_b128 v85, v[0:3]
	s_mov_b32 s16, 0x134454ff
	s_mov_b32 s17, 0xbfee6f0e
	v_lshlrev_b64 v[98:99], 4, v[88:89]
	v_mov_b32_e32 v111, v89
	v_mov_b32_e32 v112, v89
	;; [unrolled: 1-line block ×3, first 2 shown]
	s_mov_b32 s7, 0x3fee6f0e
	s_mov_b32 s6, s16
	v_add_co_u32 v4, s0, s1, v98
	v_add_co_ci_u32_e64 v5, s0, s4, v99, s0
	v_lshlrev_b64 v[90:91], 4, v[110:111]
	v_add_nc_u32_e32 v111, 0x1e0, v84
	s_mov_b32 s12, 0x4755a5e
	global_load_dwordx4 v[4:7], v[4:5], off
	s_mov_b32 s13, 0xbfe2cf23
	s_mov_b32 s5, 0x3fe2cf23
	v_add_co_u32 v8, s0, s1, v90
	v_add_co_ci_u32_e64 v9, s0, s4, v91, s0
	v_lshlrev_b64 v[94:95], 4, v[111:112]
	v_add_nc_u32_e32 v112, 0x280, v84
	s_mov_b32 s10, 0x372fe950
	global_load_dwordx4 v[11:14], v[8:9], off
	s_mov_b32 s11, 0x3fd3c6ef
	s_mov_b32 s20, 0x9b97f4a8
	v_add_co_u32 v8, s0, s1, v94
	v_add_co_ci_u32_e64 v9, s0, s4, v95, s0
	v_lshlrev_b64 v[96:97], 4, v[112:113]
	s_mov_b32 s19, 0xbfd3c6ef
	s_mov_b32 s18, s10
	global_load_dwordx4 v[15:18], v[8:9], off
	ds_read_b128 v[0:3], v85 offset:2560
	ds_read_b128 v[19:22], v10 offset:48640
	s_mov_b32 s21, 0x3fe9e377
	v_add_co_u32 v8, s0, s1, v96
	v_add_co_ci_u32_e64 v9, s0, s4, v97, s0
	s_mov_b32 s15, 0xbfe9e377
	s_mov_b32 s14, s20
	global_load_dwordx4 v[23:26], v[8:9], off
	s_waitcnt lgkmcnt(0)
	v_add_f64 v[8:9], v[0:1], v[19:20]
	v_add_f64 v[27:28], v[21:22], v[2:3]
	v_add_f64 v[19:20], v[0:1], -v[19:20]
	v_add_f64 v[0:1], v[2:3], -v[21:22]
	s_waitcnt vmcnt(3)
	v_fma_f64 v[2:3], v[19:20], v[6:7], v[8:9]
	v_fma_f64 v[21:22], v[27:28], v[6:7], v[0:1]
	v_fma_f64 v[8:9], -v[19:20], v[6:7], v[8:9]
	v_fma_f64 v[29:30], v[27:28], v[6:7], -v[0:1]
	v_fma_f64 v[0:1], -v[27:28], v[4:5], v[2:3]
	v_fma_f64 v[2:3], v[19:20], v[4:5], v[21:22]
	v_fma_f64 v[6:7], v[27:28], v[4:5], v[8:9]
	v_fma_f64 v[8:9], v[19:20], v[4:5], v[29:30]
	v_add_nc_u32_e32 v4, 0x320, v84
	v_mov_b32_e32 v5, v89
	ds_write_b128 v85, v[0:3] offset:2560
	ds_write_b128 v10, v[6:9] offset:48640
	v_lshlrev_b64 v[100:101], 4, v[4:5]
	ds_read_b128 v[0:3], v85 offset:5120
	ds_read_b128 v[4:7], v10 offset:46080
	v_add_co_u32 v19, s0, s1, v100
	v_add_co_ci_u32_e64 v20, s0, s4, v101, s0
	global_load_dwordx4 v[19:22], v[19:20], off
	s_waitcnt lgkmcnt(0)
	v_add_f64 v[8:9], v[0:1], v[4:5]
	v_add_f64 v[27:28], v[6:7], v[2:3]
	v_add_f64 v[29:30], v[0:1], -v[4:5]
	v_add_f64 v[0:1], v[2:3], -v[6:7]
	s_waitcnt vmcnt(3)
	v_fma_f64 v[2:3], v[29:30], v[13:14], v[8:9]
	v_fma_f64 v[4:5], v[27:28], v[13:14], v[0:1]
	v_fma_f64 v[6:7], -v[29:30], v[13:14], v[8:9]
	v_fma_f64 v[8:9], v[27:28], v[13:14], -v[0:1]
	v_fma_f64 v[0:1], -v[27:28], v[11:12], v[2:3]
	v_fma_f64 v[2:3], v[29:30], v[11:12], v[4:5]
	v_fma_f64 v[4:5], v[27:28], v[11:12], v[6:7]
	v_fma_f64 v[6:7], v[29:30], v[11:12], v[8:9]
	v_add_nc_u32_e32 v8, 0x3c0, v84
	v_mov_b32_e32 v9, v89
	ds_write_b128 v85, v[0:3] offset:5120
	ds_write_b128 v10, v[4:7] offset:46080
	v_lshlrev_b64 v[102:103], 4, v[8:9]
	ds_read_b128 v[0:3], v85 offset:7680
	ds_read_b128 v[4:7], v10 offset:43520
	v_add_co_u32 v8, s0, s1, v102
	v_add_co_ci_u32_e64 v9, s0, s4, v103, s0
	;; [unrolled: 24-line block ×3, first 2 shown]
	global_load_dwordx4 v[15:18], v[8:9], off
	s_waitcnt lgkmcnt(0)
	v_add_f64 v[8:9], v[0:1], v[4:5]
	v_add_f64 v[27:28], v[6:7], v[2:3]
	v_add_f64 v[29:30], v[0:1], -v[4:5]
	v_add_f64 v[0:1], v[2:3], -v[6:7]
	s_waitcnt vmcnt(3)
	v_fma_f64 v[2:3], v[29:30], v[25:26], v[8:9]
	v_fma_f64 v[4:5], v[27:28], v[25:26], v[0:1]
	v_fma_f64 v[6:7], -v[29:30], v[25:26], v[8:9]
	v_fma_f64 v[8:9], v[27:28], v[25:26], -v[0:1]
	v_fma_f64 v[0:1], -v[27:28], v[23:24], v[2:3]
	v_fma_f64 v[2:3], v[29:30], v[23:24], v[4:5]
	v_fma_f64 v[4:5], v[27:28], v[23:24], v[6:7]
	;; [unrolled: 1-line block ×3, first 2 shown]
	v_or_b32_e32 v8, 0x500, v84
	v_mov_b32_e32 v9, v89
	ds_write_b128 v85, v[0:3] offset:10240
	ds_write_b128 v10, v[4:7] offset:40960
	v_lshlrev_b64 v[106:107], 4, v[8:9]
	ds_read_b128 v[0:3], v85 offset:12800
	ds_read_b128 v[4:7], v10 offset:38400
	v_add_co_u32 v8, s0, s1, v106
	v_add_co_ci_u32_e64 v9, s0, s4, v107, s0
	global_load_dwordx4 v[23:26], v[8:9], off
	s_waitcnt lgkmcnt(0)
	v_add_f64 v[8:9], v[0:1], v[4:5]
	v_add_f64 v[27:28], v[6:7], v[2:3]
	v_add_f64 v[29:30], v[0:1], -v[4:5]
	v_add_f64 v[0:1], v[2:3], -v[6:7]
	s_waitcnt vmcnt(3)
	v_fma_f64 v[2:3], v[29:30], v[21:22], v[8:9]
	v_fma_f64 v[4:5], v[27:28], v[21:22], v[0:1]
	v_fma_f64 v[6:7], -v[29:30], v[21:22], v[8:9]
	v_fma_f64 v[8:9], v[27:28], v[21:22], -v[0:1]
	v_fma_f64 v[0:1], -v[27:28], v[19:20], v[2:3]
	v_fma_f64 v[2:3], v[29:30], v[19:20], v[4:5]
	v_fma_f64 v[4:5], v[27:28], v[19:20], v[6:7]
	;; [unrolled: 1-line block ×3, first 2 shown]
	v_add_nc_u32_e32 v8, 0x5a0, v84
	v_mov_b32_e32 v9, v89
	ds_write_b128 v85, v[0:3] offset:12800
	ds_write_b128 v10, v[4:7] offset:38400
	v_lshlrev_b64 v[108:109], 4, v[8:9]
	ds_read_b128 v[0:3], v85 offset:15360
	ds_read_b128 v[4:7], v10 offset:35840
	v_add_co_u32 v8, s0, s1, v108
	v_add_co_ci_u32_e64 v9, s0, s4, v109, s0
	s_mov_b32 s4, s12
	v_cmp_gt_u32_e64 s0, 0x64, v84
	global_load_dwordx4 v[19:22], v[8:9], off
	s_waitcnt lgkmcnt(0)
	v_add_f64 v[8:9], v[0:1], v[4:5]
	v_add_f64 v[27:28], v[6:7], v[2:3]
	v_add_f64 v[29:30], v[0:1], -v[4:5]
	v_add_f64 v[0:1], v[2:3], -v[6:7]
	s_waitcnt vmcnt(3)
	v_fma_f64 v[2:3], v[29:30], v[13:14], v[8:9]
	v_fma_f64 v[4:5], v[27:28], v[13:14], v[0:1]
	v_fma_f64 v[6:7], -v[29:30], v[13:14], v[8:9]
	v_fma_f64 v[8:9], v[27:28], v[13:14], -v[0:1]
	v_fma_f64 v[0:1], -v[27:28], v[11:12], v[2:3]
	v_fma_f64 v[2:3], v[29:30], v[11:12], v[4:5]
	v_fma_f64 v[4:5], v[27:28], v[11:12], v[6:7]
	v_fma_f64 v[6:7], v[29:30], v[11:12], v[8:9]
	ds_write_b128 v85, v[0:3] offset:15360
	ds_write_b128 v10, v[4:7] offset:35840
	ds_read_b128 v[0:3], v85 offset:17920
	ds_read_b128 v[4:7], v10 offset:33280
	s_waitcnt lgkmcnt(0)
	v_add_f64 v[8:9], v[0:1], v[4:5]
	v_add_f64 v[11:12], v[6:7], v[2:3]
	v_add_f64 v[13:14], v[0:1], -v[4:5]
	v_add_f64 v[0:1], v[2:3], -v[6:7]
	s_waitcnt vmcnt(2)
	v_fma_f64 v[2:3], v[13:14], v[17:18], v[8:9]
	v_fma_f64 v[4:5], v[11:12], v[17:18], v[0:1]
	v_fma_f64 v[6:7], -v[13:14], v[17:18], v[8:9]
	v_fma_f64 v[8:9], v[11:12], v[17:18], -v[0:1]
	v_fma_f64 v[0:1], -v[11:12], v[15:16], v[2:3]
	v_fma_f64 v[2:3], v[13:14], v[15:16], v[4:5]
	v_fma_f64 v[4:5], v[11:12], v[15:16], v[6:7]
	v_fma_f64 v[6:7], v[13:14], v[15:16], v[8:9]
	ds_write_b128 v85, v[0:3] offset:17920
	ds_write_b128 v10, v[4:7] offset:33280
	ds_read_b128 v[0:3], v85 offset:20480
	ds_read_b128 v[4:7], v10 offset:30720
	;; [unrolled: 18-line block ×3, first 2 shown]
	s_waitcnt lgkmcnt(0)
	v_add_f64 v[8:9], v[0:1], v[4:5]
	v_add_f64 v[11:12], v[6:7], v[2:3]
	v_add_f64 v[13:14], v[0:1], -v[4:5]
	v_add_f64 v[0:1], v[2:3], -v[6:7]
	s_waitcnt vmcnt(0)
	v_fma_f64 v[2:3], v[13:14], v[21:22], v[8:9]
	v_fma_f64 v[4:5], v[11:12], v[21:22], v[0:1]
	v_fma_f64 v[6:7], -v[13:14], v[21:22], v[8:9]
	v_fma_f64 v[8:9], v[11:12], v[21:22], -v[0:1]
	v_fma_f64 v[0:1], -v[11:12], v[19:20], v[2:3]
	v_fma_f64 v[2:3], v[13:14], v[19:20], v[4:5]
	v_fma_f64 v[4:5], v[11:12], v[19:20], v[6:7]
	;; [unrolled: 1-line block ×3, first 2 shown]
	ds_write_b128 v85, v[0:3] offset:23040
	ds_write_b128 v10, v[4:7] offset:28160
	s_waitcnt lgkmcnt(0)
	s_barrier
	buffer_gl0_inv
	s_barrier
	buffer_gl0_inv
	ds_read_b128 v[32:35], v85
	ds_read_b128 v[54:57], v85 offset:10240
	ds_read_b128 v[76:79], v85 offset:20480
	;; [unrolled: 1-line block ×19, first 2 shown]
	s_waitcnt lgkmcnt(0)
	v_add_f64 v[119:120], v[34:35], v[56:57]
	v_add_f64 v[113:114], v[32:33], v[54:55]
	;; [unrolled: 1-line block ×3, first 2 shown]
	v_add_f64 v[48:49], v[78:79], -v[10:11]
	v_add_f64 v[169:170], v[54:55], -v[76:77]
	v_add_f64 v[123:124], v[78:79], v[10:11]
	v_add_f64 v[171:172], v[56:57], -v[78:79]
	v_add_f64 v[125:126], v[54:55], v[4:5]
	v_add_f64 v[64:65], v[78:79], -v[56:57]
	v_add_f64 v[129:130], v[56:57], v[6:7]
	v_add_f64 v[173:174], v[4:5], -v[8:9]
	v_add_f64 v[127:128], v[115:116], v[70:71]
	v_add_f64 v[175:176], v[6:7], -v[10:11]
	v_add_f64 v[131:132], v[117:118], v[72:73]
	v_add_f64 v[157:158], v[70:71], -v[80:81]
	v_add_f64 v[137:138], v[80:81], v[28:29]
	v_add_f64 v[177:178], v[145:146], v[24:25]
	v_add_f64 v[179:180], v[147:148], v[26:27]
	v_add_f64 v[68:69], v[80:81], -v[70:71]
	v_add_f64 v[139:140], v[82:83], v[30:31]
	v_add_f64 v[58:59], v[80:81], -v[28:29]
	v_add_f64 v[159:160], v[72:73], -v[82:83]
	v_add_f64 v[141:142], v[70:71], v[20:21]
	v_add_f64 v[149:150], v[72:73], v[22:23]
	;; [unrolled: 1-line block ×14, first 2 shown]
	v_fma_f64 v[119:120], v[121:122], -0.5, v[32:33]
	v_fma_f64 v[127:128], v[125:126], -0.5, v[32:33]
	;; [unrolled: 1-line block ×4, first 2 shown]
	v_add_f64 v[177:178], v[20:21], -v[28:29]
	v_add_f64 v[179:180], v[22:23], -v[30:31]
	;; [unrolled: 1-line block ×12, first 2 shown]
	v_add_f64 v[76:77], v[113:114], v[76:77]
	v_add_f64 v[82:83], v[131:132], v[82:83]
	v_add_f64 v[151:152], v[135:136], -v[147:148]
	v_fma_f64 v[123:124], v[123:124], -0.5, v[34:35]
	v_fma_f64 v[131:132], v[129:130], -0.5, v[34:35]
	v_add_f64 v[143:144], v[147:148], -v[135:136]
	v_add_f64 v[34:35], v[135:136], -v[18:19]
	;; [unrolled: 1-line block ×4, first 2 shown]
	v_fma_f64 v[135:136], v[137:138], -0.5, v[115:116]
	v_fma_f64 v[137:138], v[141:142], -0.5, v[115:116]
	;; [unrolled: 1-line block ×4, first 2 shown]
	v_add_f64 v[115:116], v[42:43], -v[14:15]
	v_add_f64 v[153:154], v[36:37], -v[40:41]
	v_add_f64 v[145:146], v[165:166], v[145:146]
	v_add_f64 v[147:148], v[167:168], v[147:148]
	v_add_f64 v[149:150], v[40:41], -v[36:37]
	v_add_f64 v[117:118], v[40:41], -v[12:13]
	v_fma_f64 v[129:130], v[181:182], -0.5, v[161:162]
	v_fma_f64 v[133:134], v[183:184], -0.5, v[163:164]
	;; [unrolled: 1-line block ×6, first 2 shown]
	v_add_f64 v[183:184], v[38:39], -v[42:43]
	v_add_f64 v[185:186], v[185:186], v[40:41]
	v_add_f64 v[187:188], v[187:188], v[42:43]
	v_add_f64 v[189:190], v[42:43], -v[38:39]
	v_add_f64 v[40:41], v[38:39], -v[2:3]
	;; [unrolled: 1-line block ×3, first 2 shown]
	v_add_f64 v[36:37], v[169:170], v[173:174]
	v_add_f64 v[169:170], v[28:29], -v[20:21]
	v_add_f64 v[38:39], v[171:172], v[175:176]
	v_add_f64 v[44:45], v[157:158], v[177:178]
	v_add_f64 v[173:174], v[16:17], -v[24:25]
	v_add_f64 v[46:47], v[159:160], v[179:180]
	v_add_f64 v[158:159], v[18:19], -v[26:27]
	v_add_f64 v[175:176], v[0:1], -v[12:13]
	;; [unrolled: 1-line block ×5, first 2 shown]
	v_add_f64 v[8:9], v[76:77], v[8:9]
	v_add_f64 v[191:192], v[10:11], -v[6:7]
	v_add_f64 v[10:11], v[78:79], v[10:11]
	v_add_f64 v[28:29], v[80:81], v[28:29]
	v_add_f64 v[30:31], v[82:83], v[30:31]
	v_fma_f64 v[76:77], v[62:63], s[6:7], v[139:140]
	v_fma_f64 v[78:79], v[60:61], s[16:17], v[135:136]
	;; [unrolled: 1-line block ×3, first 2 shown]
	v_and_b32_e32 v157, 0xff, v84
	v_fma_f64 v[139:140], v[62:63], s[16:17], v[139:140]
	v_add_f64 v[177:178], v[2:3], -v[14:15]
	v_fma_f64 v[119:120], v[52:53], s[6:7], v[119:120]
	v_add_f64 v[68:69], v[68:69], v[169:170]
	v_add_f64 v[169:170], v[24:25], -v[16:17]
	v_add_f64 v[24:25], v[145:146], v[24:25]
	v_add_f64 v[74:75], v[74:75], v[173:174]
	v_add_f64 v[173:174], v[12:13], -v[0:1]
	v_add_f64 v[158:159], v[151:152], v[158:159]
	;; [unrolled: 3-line block ×3, first 2 shown]
	v_add_f64 v[171:172], v[26:27], -v[18:19]
	v_add_f64 v[26:27], v[147:148], v[26:27]
	v_add_f64 v[12:13], v[185:186], v[12:13]
	v_fma_f64 v[145:146], v[58:59], s[16:17], v[141:142]
	v_fma_f64 v[141:142], v[58:59], s[6:7], v[141:142]
	v_mul_lo_u16 v157, 0xcd, v157
	v_fma_f64 v[82:83], v[54:55], s[6:7], v[123:124]
	v_fma_f64 v[147:148], v[56:57], s[6:7], v[137:138]
	;; [unrolled: 1-line block ×5, first 2 shown]
	v_add_f64 v[4:5], v[8:9], v[4:5]
	v_fma_f64 v[8:9], v[117:118], s[16:17], v[167:168]
	v_fma_f64 v[167:168], v[117:118], s[6:7], v[167:168]
	v_add_f64 v[72:73], v[72:73], v[169:170]
	v_lshrrev_b16 v157, 11, v157
	v_add_f64 v[14:15], v[187:188], v[14:15]
	v_add_f64 v[149:150], v[149:150], v[173:174]
	v_fma_f64 v[173:174], v[50:51], s[16:17], v[131:132]
	v_fma_f64 v[131:132], v[50:51], s[6:7], v[131:132]
	v_add_f64 v[169:170], v[189:190], v[175:176]
	v_fma_f64 v[175:176], v[42:43], s[6:7], v[165:166]
	v_fma_f64 v[165:166], v[42:43], s[16:17], v[165:166]
	v_mul_lo_u16 v151, v157, 10
	v_fma_f64 v[137:138], v[56:57], s[16:17], v[137:138]
	v_add_f64 v[6:7], v[10:11], v[6:7]
	v_add_f64 v[20:21], v[28:29], v[20:21]
	;; [unrolled: 1-line block ×5, first 2 shown]
	v_fma_f64 v[24:25], v[58:59], s[4:5], v[76:77]
	v_fma_f64 v[26:27], v[56:57], s[12:13], v[78:79]
	v_mov_b32_e32 v154, 9
	v_sub_nc_u16 v151, v84, v151
	v_add_f64 v[12:13], v[12:13], v[0:1]
	v_fma_f64 v[76:77], v[48:49], s[12:13], v[80:81]
	v_fma_f64 v[80:81], v[62:63], s[4:5], v[145:146]
	;; [unrolled: 1-line block ×4, first 2 shown]
	v_mul_u32_u24_sdwa v160, v151, v154 dst_sel:DWORD dst_unused:UNUSED_PAD src0_sel:BYTE_0 src1_sel:DWORD
	v_add_f64 v[64:65], v[64:65], v[191:192]
	v_add_f64 v[177:178], v[183:184], v[177:178]
	;; [unrolled: 1-line block ×3, first 2 shown]
	v_fma_f64 v[171:172], v[48:49], s[6:7], v[127:128]
	v_fma_f64 v[127:128], v[48:49], s[16:17], v[127:128]
	;; [unrolled: 1-line block ×10, first 2 shown]
	v_add_f64 v[155:156], v[155:156], v[181:182]
	v_fma_f64 v[181:182], v[34:35], s[16:17], v[121:122]
	v_fma_f64 v[10:11], v[115:116], s[6:7], v[163:164]
	;; [unrolled: 1-line block ×6, first 2 shown]
	v_lshlrev_b32_e32 v192, 4, v160
	v_fma_f64 v[183:184], v[113:114], s[6:7], v[125:126]
	v_fma_f64 v[160:161], v[40:41], s[6:7], v[161:162]
	;; [unrolled: 1-line block ×3, first 2 shown]
	v_add_f64 v[14:15], v[14:15], v[2:3]
	v_fma_f64 v[60:61], v[60:61], s[4:5], v[137:138]
	v_add_f64 v[0:1], v[4:5], v[20:21]
	v_add_f64 v[2:3], v[6:7], v[22:23]
	v_add_f64 v[4:5], v[4:5], -v[20:21]
	v_add_f64 v[6:7], v[6:7], -v[22:23]
	v_fma_f64 v[20:21], v[46:47], s[10:11], v[24:25]
	v_fma_f64 v[22:23], v[44:45], s[10:11], v[26:27]
	;; [unrolled: 1-line block ×4, first 2 shown]
	v_add_f64 v[8:9], v[16:17], v[12:13]
	v_add_f64 v[12:13], v[16:17], -v[12:13]
	v_fma_f64 v[16:17], v[66:67], s[10:11], v[80:81]
	v_fma_f64 v[133:134], v[32:33], s[6:7], v[133:134]
	;; [unrolled: 1-line block ×24, first 2 shown]
	v_add_f64 v[10:11], v[18:19], v[14:15]
	v_add_f64 v[14:15], v[18:19], -v[14:15]
	v_fma_f64 v[18:19], v[68:69], s[10:11], v[82:83]
	v_fma_f64 v[60:61], v[68:69], s[10:11], v[60:61]
	;; [unrolled: 1-line block ×3, first 2 shown]
	v_mul_f64 v[38:39], v[20:21], s[12:13]
	v_mul_f64 v[68:69], v[22:23], s[4:5]
	v_fma_f64 v[28:29], v[34:35], s[12:13], v[28:29]
	v_fma_f64 v[30:31], v[113:114], s[4:5], v[30:31]
	v_mul_f64 v[80:81], v[16:17], s[16:17]
	v_mul_f64 v[16:17], v[16:17], s[10:11]
	v_fma_f64 v[113:114], v[113:114], s[12:13], v[133:134]
	v_mul_f64 v[119:120], v[62:63], s[16:17]
	v_mul_f64 v[62:63], v[62:63], s[18:19]
	v_fma_f64 v[70:71], v[70:71], s[4:5], v[121:122]
	v_fma_f64 v[44:45], v[44:45], s[10:11], v[56:57]
	v_mul_f64 v[121:122], v[46:47], s[12:13]
	v_mul_f64 v[46:47], v[46:47], s[14:15]
	v_fma_f64 v[32:33], v[32:33], s[12:13], v[125:126]
	;; [unrolled: 7-line block ×3, first 2 shown]
	v_fma_f64 v[40:41], v[149:150], s[10:11], v[40:41]
	v_mul_f64 v[129:130], v[42:43], s[16:17]
	v_mul_f64 v[42:43], v[42:43], s[18:19]
	v_fma_f64 v[82:83], v[158:159], s[10:11], v[131:132]
	v_fma_f64 v[115:116], v[152:153], s[10:11], v[115:116]
	v_mul_f64 v[131:132], v[36:37], s[12:13]
	v_mul_f64 v[36:37], v[36:37], s[14:15]
	v_fma_f64 v[22:23], v[22:23], s[20:21], v[38:39]
	v_fma_f64 v[38:39], v[20:21], s[20:21], v[68:69]
	;; [unrolled: 1-line block ×24, first 2 shown]
	v_add_f64 v[16:17], v[24:25], v[22:23]
	v_add_f64 v[18:19], v[26:27], v[38:39]
	v_add_f64 v[20:21], v[24:25], -v[22:23]
	v_add_f64 v[22:23], v[26:27], -v[38:39]
	v_add_f64 v[24:25], v[66:67], v[28:29]
	v_add_f64 v[26:27], v[76:77], v[30:31]
	v_add_f64 v[28:29], v[66:67], -v[28:29]
	v_add_f64 v[32:33], v[52:53], v[113:114]
	v_add_f64 v[34:35], v[54:55], v[60:61]
	v_add_f64 v[40:41], v[48:49], v[62:63]
	v_add_f64 v[42:43], v[50:51], v[46:47]
	v_add_f64 v[30:31], v[76:77], -v[30:31]
	v_add_f64 v[36:37], v[52:53], -v[113:114]
	;; [unrolled: 1-line block ×5, first 2 shown]
	v_add_f64 v[48:49], v[56:57], v[64:65]
	v_add_f64 v[50:51], v[82:83], v[58:59]
	v_add_f64 v[52:53], v[56:57], -v[64:65]
	v_add_f64 v[54:55], v[82:83], -v[58:59]
	v_add_f64 v[56:57], v[68:69], v[70:71]
	v_add_f64 v[58:59], v[133:134], v[74:75]
	v_add_f64 v[64:65], v[72:73], v[78:79]
	v_add_f64 v[66:67], v[80:81], v[117:118]
	v_add_f64 v[60:61], v[68:69], -v[70:71]
	v_add_f64 v[68:69], v[119:120], v[121:122]
	v_add_f64 v[70:71], v[135:136], v[115:116]
	v_mad_u32_u24 v191, 0x90, v84, v85
	v_add_f64 v[62:63], v[133:134], -v[74:75]
	v_add_f64 v[72:73], v[72:73], -v[78:79]
	v_add_f64 v[74:75], v[80:81], -v[117:118]
	v_add_f64 v[76:77], v[119:120], -v[121:122]
	v_add_f64 v[78:79], v[135:136], -v[115:116]
	s_barrier
	buffer_gl0_inv
	ds_write_b128 v191, v[0:3]
	ds_write_b128 v191, v[4:7] offset:80
	ds_write_b128 v191, v[8:11] offset:25600
	;; [unrolled: 1-line block ×19, first 2 shown]
	v_mov_b32_e32 v0, 0xcccd
	s_waitcnt lgkmcnt(0)
	s_barrier
	buffer_gl0_inv
	s_clause 0x4
	global_load_dwordx4 v[36:39], v192, s[8:9]
	global_load_dwordx4 v[32:35], v192, s[8:9] offset:16
	global_load_dwordx4 v[68:71], v192, s[8:9] offset:32
	;; [unrolled: 1-line block ×4, first 2 shown]
	v_mul_u32_u24_sdwa v0, v88, v0 dst_sel:DWORD dst_unused:UNUSED_PAD src0_sel:WORD_0 src1_sel:DWORD
	s_clause 0x2
	global_load_dwordx4 v[56:59], v192, s[8:9] offset:80
	global_load_dwordx4 v[48:51], v192, s[8:9] offset:96
	;; [unrolled: 1-line block ×3, first 2 shown]
	v_mov_b32_e32 v150, 0x640
	v_lshrrev_b32_e32 v114, 19, v0
	v_mov_b32_e32 v113, 4
	v_add_nc_u32_e32 v116, 0xffffff9c, v84
	v_mov_b32_e32 v173, v89
	v_mov_b32_e32 v117, 0x147b
	v_mul_lo_u16 v0, v114, 10
	v_lshrrev_b16 v180, 2, v88
	v_cndmask_b32_e64 v116, v116, v84, s0
	v_lshrrev_b16 v181, 2, v110
	v_lshrrev_b16 v184, 2, v111
	v_sub_nc_u16 v115, v88, v0
	v_mul_u32_u24_sdwa v185, v180, v117 dst_sel:DWORD dst_unused:UNUSED_PAD src0_sel:WORD_0 src1_sel:DWORD
	v_mul_i32_i24_e32 v172, 3, v116
	v_mul_u32_u24_sdwa v186, v181, v117 dst_sel:DWORD dst_unused:UNUSED_PAD src0_sel:WORD_0 src1_sel:DWORD
	v_mul_u32_u24_sdwa v0, v115, v154 dst_sel:DWORD dst_unused:UNUSED_PAD src0_sel:WORD_0 src1_sel:DWORD
	v_lshlrev_b64 v[172:173], 4, v[172:173]
	v_lshlrev_b32_e32 v28, 4, v0
	s_clause 0x9
	global_load_dwordx4 v[40:43], v192, s[8:9] offset:128
	global_load_dwordx4 v[52:55], v28, s[8:9]
	global_load_dwordx4 v[0:3], v28, s[8:9] offset:16
	global_load_dwordx4 v[4:7], v28, s[8:9] offset:32
	;; [unrolled: 1-line block ×8, first 2 shown]
	ds_read_b128 v[80:83], v85 offset:5120
	ds_read_b128 v[76:79], v85 offset:10240
	;; [unrolled: 1-line block ×14, first 2 shown]
	s_waitcnt vmcnt(17) lgkmcnt(13)
	v_mul_f64 v[166:167], v[82:83], v[38:39]
	v_mul_f64 v[38:39], v[80:81], v[38:39]
	s_waitcnt vmcnt(15) lgkmcnt(11)
	v_mul_f64 v[174:175], v[74:75], v[70:71]
	v_mul_f64 v[70:71], v[72:73], v[70:71]
	;; [unrolled: 3-line block ×3, first 2 shown]
	v_mul_f64 v[170:171], v[76:77], v[34:35]
	v_mul_f64 v[178:179], v[118:119], v[66:67]
	v_fma_f64 v[80:81], v[80:81], v[36:37], v[166:167]
	v_fma_f64 v[38:39], v[82:83], v[36:37], -v[38:39]
	s_waitcnt vmcnt(13) lgkmcnt(8)
	v_mul_f64 v[82:83], v[128:129], v[62:63]
	v_mul_f64 v[166:167], v[126:127], v[62:63]
	v_fma_f64 v[72:73], v[72:73], v[68:69], v[174:175]
	v_fma_f64 v[70:71], v[74:75], v[68:69], -v[70:71]
	s_waitcnt vmcnt(11) lgkmcnt(4)
	v_mul_f64 v[74:75], v[144:145], v[50:51]
	v_mul_f64 v[50:51], v[142:143], v[50:51]
	v_fma_f64 v[118:119], v[118:119], v[64:65], v[176:177]
	s_waitcnt vmcnt(10) lgkmcnt(2)
	v_mul_f64 v[174:175], v[154:155], v[46:47]
	v_mul_f64 v[46:47], v[152:153], v[46:47]
	v_mul_u32_u24_sdwa v176, v157, v150 dst_sel:DWORD dst_unused:UNUSED_PAD src0_sel:WORD_0 src1_sel:DWORD
	s_waitcnt vmcnt(9) lgkmcnt(1)
	v_mul_f64 v[156:157], v[160:161], v[42:43]
	ds_read_b128 v[34:37], v85 offset:28160
	v_fma_f64 v[168:169], v[76:77], v[32:33], v[168:169]
	v_fma_f64 v[32:33], v[78:79], v[32:33], -v[170:171]
	ds_read_b128 v[76:79], v85 offset:33280
	ds_read_b128 v[66:69], v85 offset:38400
	v_fma_f64 v[120:121], v[120:121], v[64:65], -v[178:179]
	ds_read_b128 v[62:65], v85 offset:43520
	v_mul_f64 v[170:171], v[136:137], v[58:59]
	v_mul_f64 v[58:59], v[134:135], v[58:59]
	;; [unrolled: 1-line block ×3, first 2 shown]
	v_lshlrev_b32_sdwa v177, v113, v151 dst_sel:DWORD dst_unused:UNUSED_PAD src0_sel:DWORD src1_sel:BYTE_0
	v_fma_f64 v[82:83], v[126:127], v[60:61], v[82:83]
	v_fma_f64 v[126:127], v[128:129], v[60:61], -v[166:167]
	s_waitcnt vmcnt(8)
	v_mul_f64 v[128:129], v[132:133], v[54:55]
	v_mul_f64 v[150:151], v[130:131], v[54:55]
	s_waitcnt vmcnt(7)
	v_mul_f64 v[166:167], v[140:141], v[2:3]
	v_fma_f64 v[74:75], v[142:143], v[48:49], v[74:75]
	v_fma_f64 v[48:49], v[144:145], v[48:49], -v[50:51]
	v_mul_f64 v[2:3], v[138:139], v[2:3]
	s_waitcnt vmcnt(6)
	v_mul_f64 v[50:51], v[148:149], v[6:7]
	s_waitcnt vmcnt(5) lgkmcnt(4)
	v_mul_f64 v[144:145], v[164:165], v[10:11]
	v_fma_f64 v[152:153], v[152:153], v[44:45], v[174:175]
	v_fma_f64 v[44:45], v[154:155], v[44:45], -v[46:47]
	v_mul_f64 v[10:11], v[162:163], v[10:11]
	s_waitcnt vmcnt(4) lgkmcnt(3)
	v_mul_f64 v[46:47], v[36:37], v[14:15]
	v_mul_f64 v[14:15], v[34:35], v[14:15]
	s_waitcnt vmcnt(3) lgkmcnt(2)
	v_mul_f64 v[154:155], v[78:79], v[18:19]
	v_fma_f64 v[156:157], v[158:159], v[40:41], v[156:157]
	v_mul_f64 v[18:19], v[76:77], v[18:19]
	s_waitcnt vmcnt(1) lgkmcnt(0)
	v_mul_f64 v[158:159], v[64:65], v[26:27]
	v_mul_f64 v[26:27], v[62:63], v[26:27]
	v_fma_f64 v[134:135], v[134:135], v[56:57], v[170:171]
	v_fma_f64 v[136:137], v[136:137], v[56:57], -v[58:59]
	ds_read_b128 v[54:57], v85 offset:48640
	ds_read_b128 v[58:61], v85
	v_mul_f64 v[142:143], v[146:147], v[6:7]
	v_fma_f64 v[40:41], v[160:161], v[40:41], -v[42:43]
	v_mul_f64 v[42:43], v[68:69], v[22:23]
	v_mul_f64 v[22:23], v[66:67], v[22:23]
	v_fma_f64 v[128:129], v[130:131], v[52:53], v[128:129]
	v_fma_f64 v[52:53], v[132:133], v[52:53], -v[150:151]
	v_fma_f64 v[132:133], v[138:139], v[0:1], v[166:167]
	v_fma_f64 v[0:1], v[140:141], v[0:1], -v[2:3]
	v_fma_f64 v[2:3], v[146:147], v[4:5], v[50:51]
	v_fma_f64 v[50:51], v[162:163], v[8:9], v[144:145]
	v_add_f64 v[138:139], v[118:119], -v[168:169]
	v_fma_f64 v[8:9], v[164:165], v[8:9], -v[10:11]
	v_fma_f64 v[10:11], v[34:35], v[12:13], v[46:47]
	v_fma_f64 v[12:13], v[36:37], v[12:13], -v[14:15]
	v_fma_f64 v[14:15], v[76:77], v[16:17], v[154:155]
	v_add_f64 v[76:77], v[156:157], -v[74:75]
	v_fma_f64 v[16:17], v[78:79], v[16:17], -v[18:19]
	v_fma_f64 v[18:19], v[62:63], v[24:25], v[158:159]
	s_waitcnt vmcnt(0) lgkmcnt(1)
	v_mul_f64 v[130:131], v[56:57], v[30:31]
	v_mul_f64 v[30:31], v[54:55], v[30:31]
	v_fma_f64 v[24:25], v[64:65], v[24:25], -v[26:27]
	v_add_f64 v[36:37], v[120:121], v[136:137]
	v_fma_f64 v[4:5], v[148:149], v[4:5], -v[142:143]
	v_add_f64 v[62:63], v[152:153], -v[134:135]
	v_fma_f64 v[34:35], v[66:67], v[20:21], v[42:43]
	v_fma_f64 v[20:21], v[68:69], v[20:21], -v[22:23]
	v_add_f64 v[42:43], v[32:33], v[44:45]
	v_add_f64 v[78:79], v[70:71], -v[126:127]
	v_add_f64 v[148:149], v[134:135], -v[152:153]
	;; [unrolled: 1-line block ×9, first 2 shown]
	v_add_f64 v[140:141], v[50:51], v[14:15]
	v_add_f64 v[162:163], v[126:127], -v[70:71]
	v_add_f64 v[144:145], v[8:9], v[16:17]
	v_add_f64 v[142:143], v[132:133], v[18:19]
	v_fma_f64 v[22:23], v[54:55], v[28:29], v[130:131]
	v_fma_f64 v[26:27], v[56:57], v[28:29], -v[30:31]
	v_add_f64 v[28:29], v[118:119], v[134:135]
	v_add_f64 v[30:31], v[168:169], v[152:153]
	v_add_f64 v[56:57], v[168:169], -v[118:119]
	v_add_f64 v[130:131], v[40:41], -v[48:49]
	v_add_f64 v[146:147], v[0:1], v[24:25]
	v_add_f64 v[164:165], v[48:49], -v[40:41]
	v_add_co_u32 v6, s0, s8, v172
	v_add_co_ci_u32_e64 v7, s0, s9, v173, s0
	v_add3_u32 v187, 0, v176, v177
	v_add_f64 v[172:173], v[132:133], -v[50:51]
	v_add_f64 v[174:175], v[18:19], -v[14:15]
	;; [unrolled: 1-line block ×4, first 2 shown]
	s_waitcnt lgkmcnt(0)
	v_add_f64 v[46:47], v[58:59], v[168:169]
	v_add_f64 v[54:55], v[60:61], v[32:33]
	;; [unrolled: 1-line block ×4, first 2 shown]
	v_add_f64 v[180:181], v[2:3], -v[10:11]
	v_fma_f64 v[36:37], v[36:37], -0.5, v[60:61]
	v_fma_f64 v[42:43], v[42:43], -0.5, v[60:61]
	;; [unrolled: 1-line block ×4, first 2 shown]
	v_add_f64 v[58:59], v[22:23], -v[34:35]
	v_add_f64 v[60:61], v[4:5], -v[12:13]
	v_fma_f64 v[140:141], v[140:141], -0.5, v[122:123]
	v_fma_f64 v[122:123], v[142:143], -0.5, v[122:123]
	;; [unrolled: 1-line block ×4, first 2 shown]
	v_add_f64 v[144:145], v[26:27], -v[20:21]
	v_add_f64 v[146:147], v[50:51], -v[132:133]
	v_add_f64 v[56:57], v[56:57], v[62:63]
	v_add_f64 v[62:63], v[14:15], -v[18:19]
	v_add_f64 v[78:79], v[78:79], v[130:131]
	;; [unrolled: 2-line block ×8, first 2 shown]
	v_add_f64 v[164:165], v[82:83], v[74:75]
	v_add_f64 v[172:173], v[172:173], v[174:175]
	;; [unrolled: 1-line block ×11, first 2 shown]
	v_mul_u32_u24_e32 v63, 0x640, v114
	v_lshrrev_b32_e32 v60, 17, v185
	v_lshlrev_b32_sdwa v185, v113, v115 dst_sel:DWORD dst_unused:UNUSED_PAD src0_sel:DWORD src1_sel:WORD_0
	v_add_f64 v[114:115], v[130:131], v[148:149]
	v_add_f64 v[130:131], v[38:39], v[70:71]
	;; [unrolled: 1-line block ×5, first 2 shown]
	v_add_f64 v[72:73], v[72:73], -v[156:157]
	v_add_f64 v[148:149], v[154:155], v[160:161]
	v_add_f64 v[154:155], v[128:129], v[2:3]
	v_fma_f64 v[160:161], v[164:165], -0.5, v[80:81]
	v_add_f64 v[164:165], v[52:53], v[4:5]
	v_fma_f64 v[80:81], v[174:175], -0.5, v[80:81]
	;; [unrolled: 2-line block ×4, first 2 shown]
	v_add_f64 v[120:121], v[120:121], -v[136:137]
	v_fma_f64 v[180:181], v[182:183], -0.5, v[128:129]
	v_add_f64 v[70:71], v[70:71], -v[40:41]
	v_fma_f64 v[128:129], v[146:147], -0.5, v[128:129]
	v_add_f64 v[146:147], v[4:5], v[26:27]
	v_add_f64 v[166:167], v[166:167], v[50:51]
	v_add_f64 v[32:33], v[32:33], -v[44:45]
	v_add_f64 v[118:119], v[118:119], -v[134:135]
	v_add_f64 v[130:131], v[130:131], v[126:127]
	v_add_f64 v[126:127], v[126:127], -v[48:49]
	v_add_f64 v[76:77], v[76:77], v[82:83]
	v_add_f64 v[82:83], v[82:83], -v[74:75]
	v_add_f64 v[168:169], v[168:169], -v[152:153]
	v_add_f64 v[170:171], v[170:171], v[8:9]
	v_add_f64 v[154:155], v[154:155], v[10:11]
	v_add_f64 v[2:3], v[2:3], -v[22:23]
	v_add_f64 v[164:165], v[164:165], v[12:13]
	v_add_f64 v[10:11], v[10:11], -v[34:35]
	;; [unrolled: 2-line block ×3, first 2 shown]
	v_fma_f64 v[178:179], v[178:179], -0.5, v[52:53]
	v_add_f64 v[12:13], v[12:13], -v[20:21]
	v_add_f64 v[132:133], v[132:133], -v[18:19]
	v_add_f64 v[50:51], v[50:51], -v[14:15]
	v_add_f64 v[46:47], v[46:47], v[134:135]
	v_fma_f64 v[134:135], v[120:121], s[6:7], v[30:31]
	v_fma_f64 v[52:53], v[146:147], -0.5, v[52:53]
	v_add_f64 v[14:15], v[166:167], v[14:15]
	v_fma_f64 v[30:31], v[120:121], s[16:17], v[30:31]
	v_fma_f64 v[166:167], v[72:73], s[16:17], v[174:175]
	v_add_f64 v[48:49], v[130:131], v[48:49]
	v_fma_f64 v[130:131], v[70:71], s[16:17], v[160:161]
	v_add_f64 v[74:75], v[76:77], v[74:75]
	v_fma_f64 v[76:77], v[72:73], s[6:7], v[174:175]
	v_fma_f64 v[146:147], v[82:83], s[16:17], v[38:39]
	v_fma_f64 v[38:39], v[82:83], s[6:7], v[38:39]
	v_add_f64 v[34:35], v[154:155], v[34:35]
	v_fma_f64 v[154:155], v[126:127], s[6:7], v[80:81]
	v_add_f64 v[20:21], v[164:165], v[20:21]
	v_fma_f64 v[80:81], v[126:127], s[16:17], v[80:81]
	v_fma_f64 v[164:165], v[32:33], s[16:17], v[28:29]
	;; [unrolled: 1-line block ×3, first 2 shown]
	v_add_f64 v[4:5], v[4:5], -v[26:27]
	v_add_f64 v[8:9], v[8:9], -v[16:17]
	v_add_f64 v[16:17], v[170:171], v[16:17]
	v_fma_f64 v[136:137], v[118:119], s[16:17], v[42:43]
	v_fma_f64 v[42:43], v[118:119], s[6:7], v[42:43]
	;; [unrolled: 1-line block ×7, first 2 shown]
	v_add_f64 v[40:41], v[48:49], v[40:41]
	v_fma_f64 v[48:49], v[10:11], s[16:17], v[52:53]
	v_fma_f64 v[52:53], v[10:11], s[6:7], v[52:53]
	v_add_f64 v[44:45], v[54:55], v[44:45]
	v_fma_f64 v[76:77], v[82:83], s[4:5], v[76:77]
	v_fma_f64 v[54:55], v[0:1], s[16:17], v[140:141]
	v_fma_f64 v[146:147], v[72:73], s[4:5], v[146:147]
	v_add_f64 v[74:75], v[74:75], v[156:157]
	v_fma_f64 v[156:157], v[132:133], s[6:7], v[142:143]
	v_fma_f64 v[134:135], v[32:33], s[12:13], v[134:135]
	v_fma_f64 v[30:31], v[32:33], s[4:5], v[30:31]
	v_fma_f64 v[38:39], v[72:73], s[12:13], v[38:39]
	v_fma_f64 v[154:155], v[70:71], s[12:13], v[154:155]
	v_fma_f64 v[70:71], v[70:71], s[4:5], v[80:81]
	v_fma_f64 v[80:81], v[82:83], s[12:13], v[166:167]
	v_fma_f64 v[82:83], v[120:121], s[12:13], v[164:165]
	v_fma_f64 v[28:29], v[120:121], s[4:5], v[28:29]
	v_fma_f64 v[120:121], v[126:127], s[12:13], v[130:131]
	v_add_f64 v[46:47], v[46:47], v[152:153]
	v_fma_f64 v[152:153], v[4:5], s[16:17], v[180:181]
	v_fma_f64 v[32:33], v[12:13], s[6:7], v[128:129]
	v_fma_f64 v[136:137], v[168:169], s[4:5], v[136:137]
	v_fma_f64 v[42:43], v[168:169], s[12:13], v[42:43]
	v_fma_f64 v[168:169], v[8:9], s[6:7], v[122:123]
	v_fma_f64 v[122:123], v[8:9], s[16:17], v[122:123]
	v_fma_f64 v[128:129], v[12:13], s[16:17], v[128:129]
	v_fma_f64 v[140:141], v[0:1], s[6:7], v[140:141]
	v_fma_f64 v[130:131], v[118:119], s[4:5], v[170:171]
	v_fma_f64 v[36:37], v[118:119], s[12:13], v[36:37]
	v_add_f64 v[18:19], v[14:15], v[18:19]
	v_fma_f64 v[14:15], v[10:11], s[4:5], v[174:175]
	v_fma_f64 v[48:49], v[2:3], s[4:5], v[48:49]
	v_fma_f64 v[52:53], v[2:3], s[12:13], v[52:53]
	v_fma_f64 v[72:73], v[50:51], s[16:17], v[124:125]
	v_fma_f64 v[124:125], v[50:51], s[6:7], v[124:125]
	v_fma_f64 v[180:181], v[4:5], s[6:7], v[180:181]
	v_fma_f64 v[118:119], v[126:127], s[4:5], v[160:161]
	v_fma_f64 v[126:127], v[10:11], s[12:13], v[178:179]
	v_add_f64 v[24:25], v[16:17], v[24:25]
	v_add_f64 v[16:17], v[34:35], v[22:23]
	;; [unrolled: 1-line block ×4, first 2 shown]
	v_add_f64 v[10:11], v[44:45], -v[40:41]
	v_fma_f64 v[40:41], v[78:79], s[10:11], v[76:77]
	v_fma_f64 v[26:27], v[8:9], s[12:13], v[54:55]
	;; [unrolled: 1-line block ×11, first 2 shown]
	v_add3_u32 v185, 0, v63, v185
	v_fma_f64 v[22:23], v[12:13], s[12:13], v[152:153]
	v_fma_f64 v[32:33], v[4:5], s[12:13], v[32:33]
	;; [unrolled: 1-line block ×6, first 2 shown]
	v_add_f64 v[0:1], v[46:47], v[74:75]
	v_add_f64 v[8:9], v[46:47], -v[74:75]
	v_fma_f64 v[74:75], v[64:65], s[10:11], v[130:131]
	v_fma_f64 v[63:64], v[64:65], s[10:11], v[36:37]
	;; [unrolled: 1-line block ×12, first 2 shown]
	v_add_f64 v[12:13], v[18:19], v[16:17]
	v_add_f64 v[14:15], v[24:25], v[20:21]
	v_add_f64 v[16:17], v[18:19], -v[16:17]
	v_add_f64 v[18:19], v[24:25], -v[20:21]
	v_mul_f64 v[20:21], v[40:41], s[12:13]
	v_mul_f64 v[24:25], v[40:41], s[20:21]
	v_fma_f64 v[82:83], v[158:159], s[10:11], v[154:155]
	v_fma_f64 v[78:79], v[172:173], s[10:11], v[26:27]
	v_mul_f64 v[26:27], v[76:77], s[16:17]
	v_mul_f64 v[40:41], v[76:77], s[10:11]
	v_fma_f64 v[76:77], v[176:177], s[10:11], v[34:35]
	v_mul_f64 v[34:35], v[30:31], s[16:17]
	v_mul_f64 v[30:31], v[30:31], s[18:19]
	v_fma_f64 v[50:51], v[50:51], s[12:13], v[142:143]
	v_mul_f64 v[80:81], v[70:71], s[12:13]
	v_mul_f64 v[70:71], v[70:71], s[14:15]
	v_fma_f64 v[22:23], v[58:59], s[10:11], v[22:23]
	v_fma_f64 v[32:33], v[114:115], s[10:11], v[32:33]
	;; [unrolled: 1-line block ×3, first 2 shown]
	v_mul_f64 v[114:115], v[36:37], s[12:13]
	v_mul_f64 v[36:37], v[36:37], s[20:21]
	;; [unrolled: 1-line block ×6, first 2 shown]
	v_fma_f64 v[58:59], v[58:59], s[10:11], v[132:133]
	v_mul_f64 v[132:133], v[68:69], s[12:13]
	v_mul_f64 v[68:69], v[68:69], s[14:15]
	v_fma_f64 v[130:131], v[150:151], s[10:11], v[136:137]
	v_fma_f64 v[136:137], v[44:45], s[20:21], v[20:21]
	;; [unrolled: 1-line block ×24, first 2 shown]
	v_add_f64 v[20:21], v[46:47], v[136:137]
	v_add_f64 v[22:23], v[74:75], v[44:45]
	v_add_f64 v[28:29], v[120:121], v[54:55]
	v_add_f64 v[30:31], v[130:131], v[40:41]
	v_add_f64 v[24:25], v[46:47], -v[136:137]
	v_add_f64 v[26:27], v[74:75], -v[44:45]
	;; [unrolled: 1-line block ×4, first 2 shown]
	v_add_f64 v[36:37], v[134:135], v[61:62]
	v_add_f64 v[38:39], v[42:43], v[65:66]
	v_add_f64 v[40:41], v[134:135], -v[61:62]
	v_add_f64 v[42:43], v[42:43], -v[65:66]
	v_add_f64 v[44:45], v[56:57], v[50:51]
	v_add_f64 v[46:47], v[63:64], v[70:71]
	v_add_f64 v[48:49], v[56:57], -v[50:51]
	v_add_f64 v[50:51], v[63:64], -v[70:71]
	v_add_f64 v[52:53], v[78:79], v[72:73]
	v_add_f64 v[54:55], v[76:77], v[80:81]
	;; [unrolled: 1-line block ×4, first 2 shown]
	v_add_f64 v[56:57], v[78:79], -v[72:73]
	v_add_f64 v[69:70], v[82:83], v[126:127]
	v_add_f64 v[71:72], v[122:123], v[4:5]
	v_add_f64 v[58:59], v[76:77], -v[80:81]
	v_add_f64 v[73:74], v[124:125], v[132:133]
	v_add_f64 v[75:76], v[128:129], v[142:143]
	v_add_f64 v[65:66], v[138:139], -v[114:115]
	v_add_f64 v[67:68], v[140:141], -v[118:119]
	;; [unrolled: 1-line block ×6, first 2 shown]
	v_mul_lo_u16 v188, 0x64, v60
	s_barrier
	buffer_gl0_inv
	ds_write_b128 v187, v[0:3]
	ds_write_b128 v187, v[8:11] offset:800
	ds_write_b128 v187, v[20:23] offset:160
	;; [unrolled: 1-line block ×9, first 2 shown]
	ds_write_b128 v185, v[12:15]
	ds_write_b128 v185, v[52:55] offset:160
	ds_write_b128 v185, v[61:64] offset:320
	;; [unrolled: 1-line block ×9, first 2 shown]
	s_waitcnt lgkmcnt(0)
	s_barrier
	buffer_gl0_inv
	s_clause 0x1
	global_load_dwordx4 v[0:3], v[6:7], off offset:1440
	global_load_dwordx4 v[28:31], v[6:7], off offset:1456
	v_mov_b32_e32 v4, 3
	v_sub_nc_u16 v65, v88, v188
	v_lshrrev_b32_e32 v66, 17, v186
	v_lshrrev_b16 v5, 2, v112
	v_mul_u32_u24_sdwa v8, v184, v117 dst_sel:DWORD dst_unused:UNUSED_PAD src0_sel:WORD_0 src1_sel:DWORD
	global_load_dwordx4 v[40:43], v[6:7], off offset:1472
	v_mul_u32_u24_sdwa v9, v65, v4 dst_sel:DWORD dst_unused:UNUSED_PAD src0_sel:WORD_0 src1_sel:DWORD
	v_mul_lo_u16 v10, 0x64, v66
	v_mul_u32_u24_sdwa v5, v5, v117 dst_sel:DWORD dst_unused:UNUSED_PAD src0_sel:WORD_0 src1_sel:DWORD
	v_lshrrev_b32_e32 v67, 17, v8
	v_cmp_lt_u32_e64 s0, 0x63, v84
	v_lshlrev_b32_e32 v6, 4, v9
	v_sub_nc_u16 v62, v110, v10
	v_lshrrev_b32_e32 v68, 17, v5
	v_mul_lo_u16 v5, 0x64, v67
	v_mul_u32_u24_e32 v64, 3, v84
	global_load_dwordx4 v[48:51], v6, s[8:9] offset:1440
	v_mul_u32_u24_sdwa v7, v62, v4 dst_sel:DWORD dst_unused:UNUSED_PAD src0_sel:WORD_0 src1_sel:DWORD
	s_clause 0x1
	global_load_dwordx4 v[44:47], v6, s[8:9] offset:1456
	global_load_dwordx4 v[32:35], v6, s[8:9] offset:1472
	v_mul_lo_u16 v8, 0x64, v68
	v_sub_nc_u16 v63, v111, v5
	v_lshlrev_b32_e32 v5, 4, v7
	v_add_nc_u32_e32 v69, 0xffffffb0, v84
	v_cndmask_b32_e64 v71, 0, 0x1900, s0
	v_sub_nc_u16 v61, v112, v8
	v_cmp_gt_u32_e64 s0, 0x50, v84
	global_load_dwordx4 v[12:15], v5, s[8:9] offset:1472
	v_mul_u32_u24_sdwa v6, v63, v4 dst_sel:DWORD dst_unused:UNUSED_PAD src0_sel:WORD_0 src1_sel:DWORD
	s_clause 0x1
	global_load_dwordx4 v[24:27], v5, s[8:9] offset:1440
	global_load_dwordx4 v[20:23], v5, s[8:9] offset:1456
	v_mul_u32_u24_sdwa v4, v61, v4 dst_sel:DWORD dst_unused:UNUSED_PAD src0_sel:WORD_0 src1_sel:DWORD
	v_lshlrev_b32_e32 v70, 4, v64
	v_lshlrev_b32_e32 v6, 4, v6
	s_clause 0x1
	global_load_dwordx4 v[16:19], v6, s[8:9] offset:1440
	global_load_dwordx4 v[8:11], v6, s[8:9] offset:1456
	v_lshlrev_b32_e32 v56, 4, v4
	s_clause 0x3
	global_load_dwordx4 v[4:7], v6, s[8:9] offset:1472
	global_load_dwordx4 v[36:39], v56, s[8:9] offset:1440
	;; [unrolled: 1-line block ×4, first 2 shown]
	v_cndmask_b32_e64 v64, v69, v110, s0
	v_lshlrev_b32_e32 v69, 4, v116
	v_add_co_u32 v73, s0, s8, v70
	v_add_co_ci_u32_e64 v74, null, s9, 0, s0
	v_add_nc_u32_e32 v77, 0xf00, v70
	v_add_nc_u32_e32 v83, 0x2d00, v70
	v_add3_u32 v174, 0, v71, v69
	ds_read_b128 v[69:72], v85 offset:12800
	v_add_co_u32 v81, s0, 0x1800, v73
	v_add_co_ci_u32_e64 v82, s0, 0, v74, s0
	v_add_co_u32 v110, s0, 0x1860, v73
	v_add_co_ci_u32_e64 v111, s0, 0, v74, s0
	;; [unrolled: 2-line block ×4, first 2 shown]
	ds_read_b128 v[73:76], v85 offset:25600
	ds_read_b128 v[114:117], v85 offset:15360
	v_add_co_u32 v175, s0, s8, v77
	ds_read_b128 v[77:80], v85 offset:38400
	ds_read_b128 v[118:121], v85 offset:28160
	;; [unrolled: 1-line block ×4, first 2 shown]
	v_mul_u32_u24_e32 v179, 0x1900, v66
	v_mul_u32_u24_e32 v180, 0x1900, v67
	;; [unrolled: 1-line block ×3, first 2 shown]
	v_lshlrev_b32_sdwa v182, v113, v65 dst_sel:DWORD dst_unused:UNUSED_PAD src0_sel:DWORD src1_sel:WORD_0
	ds_read_b128 v[65:68], v85 offset:30720
	ds_read_b128 v[130:133], v85 offset:17920
	;; [unrolled: 1-line block ×8, first 2 shown]
	ds_read_b128 v[158:161], v85
	v_mul_u32_u24_e32 v178, 0x1900, v60
	v_mul_i32_i24_e32 v88, 3, v64
	v_add_co_ci_u32_e64 v176, null, s9, 0, s0
	v_add_co_u32 v83, s0, s8, v83
	v_add_co_ci_u32_e64 v177, null, s9, 0, s0
	s_waitcnt vmcnt(14) lgkmcnt(15)
	v_mul_f64 v[166:167], v[71:72], v[2:3]
	v_mul_f64 v[2:3], v[69:70], v[2:3]
	s_waitcnt vmcnt(13) lgkmcnt(14)
	v_mul_f64 v[168:169], v[75:76], v[30:31]
	v_mul_f64 v[30:31], v[73:74], v[30:31]
	;; [unrolled: 3-line block ×3, first 2 shown]
	s_waitcnt vmcnt(11)
	v_mul_f64 v[172:173], v[116:117], v[50:51]
	v_mul_f64 v[50:51], v[114:115], v[50:51]
	v_fma_f64 v[69:70], v[69:70], v[0:1], v[166:167]
	v_fma_f64 v[71:72], v[71:72], v[0:1], -v[2:3]
	s_waitcnt vmcnt(10) lgkmcnt(11)
	v_mul_f64 v[0:1], v[120:121], v[46:47]
	v_mul_f64 v[2:3], v[118:119], v[46:47]
	s_waitcnt vmcnt(9) lgkmcnt(10)
	v_mul_f64 v[46:47], v[124:125], v[34:35]
	v_mul_f64 v[34:35], v[122:123], v[34:35]
	v_fma_f64 v[73:74], v[73:74], v[28:29], v[168:169]
	v_fma_f64 v[30:31], v[75:76], v[28:29], -v[30:31]
	v_fma_f64 v[77:78], v[77:78], v[40:41], v[170:171]
	s_waitcnt vmcnt(7) lgkmcnt(7)
	v_mul_f64 v[28:29], v[132:133], v[26:27]
	v_mul_f64 v[26:27], v[130:131], v[26:27]
	s_waitcnt vmcnt(6)
	v_mul_f64 v[75:76], v[67:68], v[22:23]
	v_mul_f64 v[166:167], v[65:66], v[22:23]
	v_fma_f64 v[40:41], v[79:80], v[40:41], -v[42:43]
	s_waitcnt lgkmcnt(5)
	v_mul_f64 v[42:43], v[140:141], v[14:15]
	v_mul_f64 v[14:15], v[138:139], v[14:15]
	s_waitcnt vmcnt(5)
	v_mul_f64 v[79:80], v[136:137], v[18:19]
	v_mul_f64 v[168:169], v[134:135], v[18:19]
	v_fma_f64 v[114:115], v[114:115], v[48:49], v[172:173]
	v_fma_f64 v[48:49], v[116:117], v[48:49], -v[50:51]
	s_waitcnt vmcnt(4) lgkmcnt(3)
	v_mul_f64 v[50:51], v[148:149], v[10:11]
	v_mul_f64 v[10:11], v[146:147], v[10:11]
	s_waitcnt vmcnt(3)
	v_mul_f64 v[116:117], v[144:145], v[6:7]
	v_mul_f64 v[6:7], v[142:143], v[6:7]
	v_fma_f64 v[118:119], v[118:119], v[44:45], v[0:1]
	v_fma_f64 v[44:45], v[120:121], v[44:45], -v[2:3]
	s_waitcnt vmcnt(2)
	v_mul_f64 v[120:121], v[128:129], v[38:39]
	v_mul_f64 v[38:39], v[126:127], v[38:39]
	s_waitcnt vmcnt(1) lgkmcnt(2)
	v_mul_f64 v[170:171], v[152:153], v[54:55]
	v_mul_f64 v[54:55], v[150:151], v[54:55]
	v_fma_f64 v[46:47], v[122:123], v[32:33], v[46:47]
	v_fma_f64 v[32:33], v[124:125], v[32:33], -v[34:35]
	s_waitcnt vmcnt(0) lgkmcnt(1)
	v_mul_f64 v[34:35], v[156:157], v[58:59]
	v_mul_f64 v[58:59], v[154:155], v[58:59]
	v_fma_f64 v[122:123], v[130:131], v[24:25], v[28:29]
	v_fma_f64 v[124:125], v[132:133], v[24:25], -v[26:27]
	ds_read_b128 v[0:3], v85 offset:2560
	ds_read_b128 v[22:25], v85 offset:5120
	v_fma_f64 v[65:66], v[65:66], v[20:21], v[75:76]
	v_fma_f64 v[67:68], v[67:68], v[20:21], -v[166:167]
	v_fma_f64 v[42:43], v[138:139], v[12:13], v[42:43]
	v_fma_f64 v[12:13], v[140:141], v[12:13], -v[14:15]
	;; [unrolled: 2-line block ×5, first 2 shown]
	ds_read_b128 v[18:21], v85 offset:7680
	ds_read_b128 v[26:29], v85 offset:10240
	v_fma_f64 v[6:7], v[126:127], v[36:37], v[120:121]
	v_fma_f64 v[36:37], v[128:129], v[36:37], -v[38:39]
	v_fma_f64 v[38:39], v[150:151], v[52:53], v[170:171]
	v_fma_f64 v[52:53], v[152:153], v[52:53], -v[54:55]
	v_add_f64 v[40:41], v[71:72], -v[40:41]
	v_lshlrev_b32_sdwa v142, v113, v62 dst_sel:DWORD dst_unused:UNUSED_PAD src0_sel:DWORD src1_sel:WORD_0
	v_fma_f64 v[34:35], v[154:155], v[56:57], v[34:35]
	v_fma_f64 v[54:55], v[156:157], v[56:57], -v[58:59]
	s_waitcnt lgkmcnt(4)
	v_add_f64 v[56:57], v[158:159], -v[73:74]
	v_add_f64 v[58:59], v[160:161], -v[30:31]
	;; [unrolled: 1-line block ×3, first 2 shown]
	v_lshlrev_b32_sdwa v143, v113, v63 dst_sel:DWORD dst_unused:UNUSED_PAD src0_sel:DWORD src1_sel:WORD_0
	s_waitcnt lgkmcnt(3)
	v_add_f64 v[62:63], v[0:1], -v[118:119]
	v_add_f64 v[73:74], v[2:3], -v[44:45]
	v_add_f64 v[44:45], v[114:115], -v[46:47]
	v_add_f64 v[32:33], v[48:49], -v[32:33]
	s_waitcnt lgkmcnt(2)
	v_add_f64 v[65:66], v[22:23], -v[65:66]
	v_add_f64 v[67:68], v[24:25], -v[67:68]
	v_add_f64 v[42:43], v[122:123], -v[42:43]
	v_add_f64 v[12:13], v[124:125], -v[12:13]
	;; [unrolled: 5-line block ×3, first 2 shown]
	s_waitcnt lgkmcnt(0)
	v_add_f64 v[79:80], v[26:27], -v[38:39]
	v_add_f64 v[116:117], v[28:29], -v[52:53]
	v_lshlrev_b32_sdwa v144, v113, v61 dst_sel:DWORD dst_unused:UNUSED_PAD src0_sel:DWORD src1_sel:WORD_0
	v_lshlrev_b64 v[112:113], 4, v[88:89]
	v_add_f64 v[34:35], v[6:7], -v[34:35]
	v_add_f64 v[38:39], v[36:37], -v[54:55]
	v_fma_f64 v[52:53], v[158:159], 2.0, -v[56:57]
	v_fma_f64 v[54:55], v[160:161], 2.0, -v[58:59]
	;; [unrolled: 1-line block ×18, first 2 shown]
	v_add_f64 v[0:1], v[56:57], v[40:41]
	v_add_f64 v[2:3], v[58:59], -v[30:31]
	v_fma_f64 v[138:139], v[6:7], 2.0, -v[34:35]
	v_fma_f64 v[140:141], v[36:37], 2.0, -v[38:39]
	v_add_f64 v[8:9], v[65:66], v[12:13]
	v_add_f64 v[4:5], v[62:63], v[32:33]
	v_add_f64 v[12:13], v[52:53], -v[60:61]
	v_add_f64 v[14:15], v[54:55], -v[69:70]
	;; [unrolled: 1-line block ×6, first 2 shown]
	v_add_f64 v[20:21], v[75:76], v[50:51]
	v_add_f64 v[30:31], v[116:117], -v[34:35]
	v_add_f64 v[24:25], v[120:121], -v[24:25]
	;; [unrolled: 1-line block ×4, first 2 shown]
	v_add_f64 v[28:29], v[79:80], v[38:39]
	v_add_f64 v[32:33], v[124:125], -v[130:131]
	v_add_f64 v[34:35], v[128:129], -v[132:133]
	v_add3_u32 v88, 0, v178, v182
	v_add3_u32 v142, 0, v179, v142
	v_fma_f64 v[40:41], v[56:57], 2.0, -v[0:1]
	v_fma_f64 v[42:43], v[58:59], 2.0, -v[2:3]
	v_add_f64 v[36:37], v[134:135], -v[138:139]
	v_add_f64 v[38:39], v[136:137], -v[140:141]
	v_fma_f64 v[48:49], v[65:66], 2.0, -v[8:9]
	v_fma_f64 v[44:45], v[62:63], 2.0, -v[4:5]
	;; [unrolled: 1-line block ×16, first 2 shown]
	v_add3_u32 v114, 0, v180, v143
	v_add3_u32 v115, 0, v181, v144
	s_barrier
	v_fma_f64 v[77:78], v[134:135], 2.0, -v[36:37]
	v_fma_f64 v[79:80], v[136:137], 2.0, -v[38:39]
	buffer_gl0_inv
	ds_write_b128 v174, v[0:3] offset:4800
	ds_write_b128 v174, v[40:43] offset:1600
	;; [unrolled: 1-line block ×3, first 2 shown]
	ds_write_b128 v174, v[52:55]
	ds_write_b128 v88, v[56:59]
	ds_write_b128 v88, v[44:47] offset:1600
	ds_write_b128 v88, v[16:19] offset:3200
	ds_write_b128 v88, v[4:7] offset:4800
	ds_write_b128 v142, v[65:68]
	ds_write_b128 v142, v[48:51] offset:1600
	ds_write_b128 v142, v[24:27] offset:3200
	ds_write_b128 v142, v[8:11] offset:4800
	;; [unrolled: 4-line block ×4, first 2 shown]
	s_waitcnt lgkmcnt(0)
	s_barrier
	buffer_gl0_inv
	s_clause 0x1
	global_load_dwordx4 v[36:39], v[81:82], off offset:96
	global_load_dwordx4 v[40:43], v[110:111], off offset:16
	v_add_co_u32 v112, s0, s8, v112
	s_clause 0x1
	global_load_dwordx4 v[32:35], v[110:111], off offset:32
	global_load_dwordx4 v[16:19], v[164:165], off offset:1632
	v_add_co_ci_u32_e64 v113, s0, s9, v113, s0
	v_add_co_u32 v0, s0, 0x1800, v112
	v_lshlrev_b32_e32 v63, 4, v64
	v_add_co_ci_u32_e64 v1, s0, 0, v113, s0
	v_add_co_u32 v8, s0, 0x1860, v112
	v_add_co_ci_u32_e64 v9, s0, 0, v113, s0
	v_add_co_u32 v24, s0, 0x1800, v175
	;; [unrolled: 2-line block ×4, first 2 shown]
	s_clause 0x5
	global_load_dwordx4 v[20:23], v[162:163], off offset:16
	global_load_dwordx4 v[12:15], v[162:163], off offset:32
	;; [unrolled: 1-line block ×6, first 2 shown]
	v_add_co_ci_u32_e64 v49, s0, 0, v177, s0
	v_add_co_u32 v56, s0, 0x1860, v83
	s_clause 0x1
	global_load_dwordx4 v[28:31], v[44:45], off offset:16
	global_load_dwordx4 v[44:47], v[44:45], off offset:32
	v_add_co_ci_u32_e64 v57, s0, 0, v177, s0
	s_clause 0x2
	global_load_dwordx4 v[52:55], v[48:49], off offset:96
	global_load_dwordx4 v[48:51], v[56:57], off offset:16
	;; [unrolled: 1-line block ×3, first 2 shown]
	v_add_co_u32 v60, s0, s8, v92
	v_add_co_ci_u32_e64 v61, s0, s9, v93, s0
	v_cmp_lt_u32_e64 s0, 0x4f, v84
	ds_read_b128 v[69:72], v85 offset:25600
	v_cndmask_b32_e64 v62, 0, 0x6400, s0
	v_add_co_u32 v60, s0, 0x6000, v60
	v_add_co_ci_u32_e64 v61, s0, 0, v61, s0
	v_add_co_u32 v65, s0, s8, v98
	v_add_co_ci_u32_e64 v66, s0, s9, v99, s0
	v_add3_u32 v64, 0, v62, v63
	v_add_co_u32 v62, s0, 0x6000, v65
	v_add_co_ci_u32_e64 v63, s0, 0, v66, s0
	v_add_co_u32 v73, s0, s8, v90
	v_add_co_ci_u32_e64 v74, s0, s9, v91, s0
	;; [unrolled: 2-line block ×6, first 2 shown]
	v_add_co_u32 v170, s0, s8, v104
	ds_read_b128 v[65:68], v85 offset:12800
	v_add_co_ci_u32_e64 v171, s0, s9, v105, s0
	v_add_co_u32 v172, s0, s8, v106
	v_add_co_ci_u32_e64 v173, s0, s9, v107, s0
	v_add_co_u32 v174, s0, s8, v108
	;; [unrolled: 2-line block ×3, first 2 shown]
	v_add_co_ci_u32_e64 v82, s0, 0, v74, s0
	ds_read_b128 v[73:76], v85 offset:38400
	ds_read_b128 v[77:80], v85 offset:15360
	;; [unrolled: 1-line block ×13, first 2 shown]
	ds_read_b128 v[134:137], v85
	ds_read_b128 v[138:141], v85 offset:2560
	ds_read_b128 v[142:145], v85 offset:5120
	s_waitcnt vmcnt(14) lgkmcnt(16)
	v_mul_f64 v[146:147], v[67:68], v[38:39]
	v_mul_f64 v[38:39], v[65:66], v[38:39]
	s_waitcnt vmcnt(13)
	v_mul_f64 v[148:149], v[71:72], v[42:43]
	v_mul_f64 v[42:43], v[69:70], v[42:43]
	s_waitcnt vmcnt(12) lgkmcnt(15)
	v_mul_f64 v[150:151], v[75:76], v[34:35]
	v_mul_f64 v[34:35], v[73:74], v[34:35]
	s_waitcnt vmcnt(11) lgkmcnt(14)
	v_mul_f64 v[152:153], v[79:80], v[18:19]
	v_mul_f64 v[18:19], v[77:78], v[18:19]
	v_fma_f64 v[65:66], v[65:66], v[36:37], v[146:147]
	s_waitcnt vmcnt(10) lgkmcnt(11)
	v_mul_f64 v[154:155], v[100:101], v[22:23]
	v_mul_f64 v[22:23], v[98:99], v[22:23]
	s_waitcnt vmcnt(9)
	v_mul_f64 v[156:157], v[96:97], v[14:15]
	v_mul_f64 v[158:159], v[94:95], v[14:15]
	s_waitcnt vmcnt(8) lgkmcnt(9)
	v_mul_f64 v[160:161], v[108:109], v[6:7]
	v_mul_f64 v[6:7], v[106:107], v[6:7]
	s_waitcnt vmcnt(7)
	v_mul_f64 v[162:163], v[104:105], v[2:3]
	v_fma_f64 v[36:37], v[67:68], v[36:37], -v[38:39]
	v_mul_f64 v[2:3], v[102:103], v[2:3]
	s_waitcnt vmcnt(6) lgkmcnt(7)
	v_mul_f64 v[38:39], v[116:117], v[10:11]
	v_mul_f64 v[10:11], v[114:115], v[10:11]
	s_waitcnt vmcnt(5)
	v_mul_f64 v[67:68], v[112:113], v[26:27]
	v_fma_f64 v[69:70], v[69:70], v[40:41], v[148:149]
	v_fma_f64 v[40:41], v[71:72], v[40:41], -v[42:43]
	v_mul_f64 v[26:27], v[110:111], v[26:27]
	s_waitcnt vmcnt(4) lgkmcnt(5)
	v_mul_f64 v[42:43], v[124:125], v[30:31]
	v_mul_f64 v[30:31], v[122:123], v[30:31]
	s_waitcnt vmcnt(3)
	v_mul_f64 v[71:72], v[120:121], v[46:47]
	v_fma_f64 v[73:74], v[73:74], v[32:33], v[150:151]
	v_fma_f64 v[32:33], v[75:76], v[32:33], -v[34:35]
	v_mul_f64 v[34:35], v[118:119], v[46:47]
	s_waitcnt vmcnt(2)
	v_mul_f64 v[46:47], v[92:93], v[54:55]
	v_mul_f64 v[54:55], v[90:91], v[54:55]
	s_waitcnt vmcnt(1) lgkmcnt(4)
	v_mul_f64 v[75:76], v[128:129], v[50:51]
	v_mul_f64 v[50:51], v[126:127], v[50:51]
	s_waitcnt vmcnt(0) lgkmcnt(3)
	v_mul_f64 v[146:147], v[132:133], v[58:59]
	v_mul_f64 v[58:59], v[130:131], v[58:59]
	v_fma_f64 v[22:23], v[100:101], v[20:21], -v[22:23]
	v_fma_f64 v[77:78], v[77:78], v[16:17], v[152:153]
	v_fma_f64 v[79:80], v[79:80], v[16:17], -v[18:19]
	v_fma_f64 v[98:99], v[98:99], v[20:21], v[154:155]
	v_fma_f64 v[94:95], v[94:95], v[12:13], v[156:157]
	v_fma_f64 v[12:13], v[96:97], v[12:13], -v[158:159]
	v_fma_f64 v[96:97], v[106:107], v[4:5], v[160:161]
	v_fma_f64 v[4:5], v[108:109], v[4:5], -v[6:7]
	;; [unrolled: 2-line block ×7, first 2 shown]
	ds_read_b128 v[14:17], v85 offset:7680
	ds_read_b128 v[18:21], v85 offset:10240
	v_fma_f64 v[38:39], v[90:91], v[52:53], v[46:47]
	v_fma_f64 v[42:43], v[92:93], v[52:53], -v[54:55]
	v_fma_f64 v[44:45], v[126:127], v[48:49], v[75:76]
	v_fma_f64 v[46:47], v[128:129], v[48:49], -v[50:51]
	v_fma_f64 v[48:49], v[130:131], v[56:57], v[146:147]
	v_fma_f64 v[50:51], v[132:133], v[56:57], -v[58:59]
	s_waitcnt lgkmcnt(4)
	v_add_f64 v[52:53], v[134:135], -v[69:70]
	v_add_f64 v[54:55], v[136:137], -v[40:41]
	s_waitcnt lgkmcnt(3)
	v_add_f64 v[58:59], v[140:141], -v[22:23]
	v_add_f64 v[22:23], v[65:66], -v[73:74]
	;; [unrolled: 1-line block ×6, first 2 shown]
	s_waitcnt lgkmcnt(2)
	v_add_f64 v[67:68], v[142:143], -v[6:7]
	v_add_f64 v[69:70], v[144:145], -v[0:1]
	v_add_f64 v[71:72], v[96:97], -v[2:3]
	v_add_f64 v[8:9], v[4:5], -v[8:9]
	s_waitcnt lgkmcnt(1)
	v_add_f64 v[73:74], v[14:15], -v[26:27]
	v_add_f64 v[75:76], v[16:17], -v[28:29]
	v_add_f64 v[26:27], v[10:11], -v[30:31]
	v_add_f64 v[28:29], v[24:25], -v[34:35]
	v_add_co_u32 v100, s0, 0x6000, v83
	s_waitcnt lgkmcnt(0)
	v_add_f64 v[90:91], v[18:19], -v[44:45]
	v_add_f64 v[92:93], v[20:21], -v[46:47]
	;; [unrolled: 1-line block ×4, first 2 shown]
	v_fma_f64 v[98:99], v[134:135], 2.0, -v[52:53]
	v_fma_f64 v[102:103], v[136:137], 2.0, -v[54:55]
	;; [unrolled: 1-line block ×16, first 2 shown]
	v_add_f64 v[0:1], v[52:53], v[32:33]
	v_add_f64 v[2:3], v[54:55], -v[22:23]
	v_fma_f64 v[114:115], v[18:19], 2.0, -v[90:91]
	v_fma_f64 v[116:117], v[20:21], 2.0, -v[92:93]
	;; [unrolled: 1-line block ×4, first 2 shown]
	v_add_f64 v[4:5], v[56:57], v[12:13]
	v_add_f64 v[6:7], v[58:59], -v[40:41]
	v_add_f64 v[8:9], v[67:68], v[8:9]
	v_add_f64 v[20:21], v[98:99], -v[44:45]
	v_add_f64 v[22:23], v[102:103], -v[36:37]
	;; [unrolled: 1-line block ×6, first 2 shown]
	v_add_f64 v[12:13], v[73:74], v[28:29]
	v_add_f64 v[18:19], v[92:93], -v[30:31]
	v_add_f64 v[28:29], v[77:78], -v[50:51]
	;; [unrolled: 1-line block ×3, first 2 shown]
	v_add_f64 v[16:17], v[90:91], v[34:35]
	v_add_f64 v[32:33], v[96:97], -v[110:111]
	v_add_f64 v[34:35], v[108:109], -v[112:113]
	v_fma_f64 v[40:41], v[52:53], 2.0, -v[0:1]
	v_add_co_ci_u32_e64 v101, s0, 0, v88, s0
	v_add_co_u32 v94, s0, 0x6000, v164
	v_add_f64 v[36:37], v[114:115], -v[38:39]
	v_add_f64 v[38:39], v[116:117], -v[42:43]
	v_fma_f64 v[42:43], v[54:55], 2.0, -v[2:3]
	v_fma_f64 v[44:45], v[56:57], 2.0, -v[4:5]
	;; [unrolled: 1-line block ×9, first 2 shown]
	v_add_co_ci_u32_e64 v95, s0, 0, v165, s0
	v_fma_f64 v[69:70], v[77:78], 2.0, -v[28:29]
	v_fma_f64 v[71:72], v[79:80], 2.0, -v[30:31]
	;; [unrolled: 1-line block ×4, first 2 shown]
	v_add_co_u32 v118, s0, 0x6000, v166
	v_fma_f64 v[52:53], v[73:74], 2.0, -v[12:13]
	v_fma_f64 v[54:55], v[75:76], 2.0, -v[14:15]
	v_add_co_ci_u32_e64 v119, s0, 0, v167, s0
	v_add_co_u32 v110, s0, 0x6000, v168
	v_fma_f64 v[73:74], v[90:91], 2.0, -v[16:17]
	v_fma_f64 v[75:76], v[92:93], 2.0, -v[18:19]
	;; [unrolled: 1-line block ×4, first 2 shown]
	v_add_co_ci_u32_e64 v111, s0, 0, v169, s0
	v_add_co_u32 v96, s0, 0x6000, v170
	v_add_co_ci_u32_e64 v97, s0, 0, v171, s0
	s_barrier
	buffer_gl0_inv
	ds_write_b128 v85, v[0:3] offset:19200
	ds_write_b128 v85, v[4:7] offset:21760
	;; [unrolled: 1-line block ×6, first 2 shown]
	ds_write_b128 v85, v[56:59]
	ds_write_b128 v85, v[65:68] offset:2560
	ds_write_b128 v64, v[69:72]
	ds_write_b128 v64, v[48:51] offset:6400
	ds_write_b128 v64, v[28:31] offset:12800
	;; [unrolled: 1-line block ×11, first 2 shown]
	v_add_co_u32 v32, s0, 0x6000, v172
	s_waitcnt lgkmcnt(0)
	s_barrier
	buffer_gl0_inv
	s_clause 0x2
	global_load_dwordx4 v[0:3], v[60:61], off offset:864
	global_load_dwordx4 v[4:7], v[62:63], off offset:864
	;; [unrolled: 1-line block ×3, first 2 shown]
	v_add_co_ci_u32_e64 v33, s0, 0, v173, s0
	v_add_co_u32 v36, s0, 0x6000, v174
	s_clause 0x3
	global_load_dwordx4 v[12:15], v[100:101], off offset:864
	global_load_dwordx4 v[16:19], v[94:95], off offset:864
	;; [unrolled: 1-line block ×4, first 2 shown]
	v_add_co_ci_u32_e64 v37, s0, 0, v175, s0
	s_clause 0x2
	global_load_dwordx4 v[28:31], v[96:97], off offset:864
	global_load_dwordx4 v[32:35], v[32:33], off offset:864
	;; [unrolled: 1-line block ×3, first 2 shown]
	ds_read_b128 v[40:43], v85 offset:25600
	ds_read_b128 v[44:47], v85 offset:28160
	;; [unrolled: 1-line block ×10, first 2 shown]
	ds_read_b128 v[80:83], v85
	ds_read_b128 v[90:93], v85 offset:2560
	ds_read_b128 v[94:97], v85 offset:5120
	;; [unrolled: 1-line block ×9, first 2 shown]
	s_waitcnt vmcnt(0) lgkmcnt(0)
	s_barrier
	buffer_gl0_inv
	v_mul_f64 v[126:127], v[42:43], v[2:3]
	v_mul_f64 v[2:3], v[40:41], v[2:3]
	;; [unrolled: 1-line block ×20, first 2 shown]
	v_fma_f64 v[40:41], v[40:41], v[0:1], v[126:127]
	v_fma_f64 v[2:3], v[42:43], v[0:1], -v[2:3]
	v_fma_f64 v[42:43], v[44:45], v[4:5], v[128:129]
	v_fma_f64 v[6:7], v[46:47], v[4:5], -v[6:7]
	;; [unrolled: 2-line block ×10, first 2 shown]
	v_add_f64 v[0:1], v[80:81], -v[40:41]
	v_add_f64 v[2:3], v[82:83], -v[2:3]
	;; [unrolled: 1-line block ×20, first 2 shown]
	v_fma_f64 v[40:41], v[80:81], 2.0, -v[0:1]
	v_fma_f64 v[42:43], v[82:83], 2.0, -v[2:3]
	;; [unrolled: 1-line block ×20, first 2 shown]
	ds_write_b128 v85, v[0:3] offset:25600
	ds_write_b128 v85, v[4:7] offset:28160
	ds_write_b128 v85, v[8:11] offset:30720
	ds_write_b128 v85, v[12:15] offset:33280
	ds_write_b128 v85, v[16:19] offset:35840
	ds_write_b128 v85, v[20:23] offset:38400
	ds_write_b128 v85, v[24:27] offset:40960
	ds_write_b128 v85, v[28:31] offset:43520
	ds_write_b128 v85, v[32:35] offset:46080
	ds_write_b128 v85, v[36:39] offset:48640
	ds_write_b128 v85, v[40:43]
	ds_write_b128 v85, v[44:47] offset:2560
	ds_write_b128 v85, v[48:51] offset:5120
	;; [unrolled: 1-line block ×9, first 2 shown]
	s_waitcnt lgkmcnt(0)
	s_barrier
	buffer_gl0_inv
	s_and_saveexec_b32 s0, vcc_lo
	s_cbranch_execz .LBB0_19
; %bb.18:
	v_lshl_add_u32 v30, v84, 4, 0
	v_mov_b32_e32 v85, v89
	v_add_nc_u32_e32 v88, 0xa0, v84
	v_add_co_u32 v31, vcc_lo, s2, v86
	ds_read_b128 v[0:3], v30
	ds_read_b128 v[4:7], v30 offset:2560
	ds_read_b128 v[8:11], v30 offset:5120
	v_lshlrev_b64 v[12:13], 4, v[84:85]
	v_add_co_ci_u32_e32 v32, vcc_lo, s3, v87, vcc_lo
	v_lshlrev_b64 v[14:15], 4, v[88:89]
	v_add_nc_u32_e32 v88, 0x140, v84
	v_add_co_u32 v16, vcc_lo, v31, v12
	v_add_co_ci_u32_e32 v17, vcc_lo, v32, v13, vcc_lo
	v_lshlrev_b64 v[12:13], 4, v[88:89]
	v_add_nc_u32_e32 v88, 0x1e0, v84
	v_add_co_u32 v18, vcc_lo, v31, v14
	v_add_co_ci_u32_e32 v19, vcc_lo, v32, v15, vcc_lo
	v_add_co_u32 v20, vcc_lo, v31, v12
	v_lshlrev_b64 v[22:23], 4, v[88:89]
	v_add_nc_u32_e32 v88, 0x280, v84
	v_add_co_ci_u32_e32 v21, vcc_lo, v32, v13, vcc_lo
	ds_read_b128 v[12:15], v30 offset:48640
	s_waitcnt lgkmcnt(3)
	global_store_dwordx4 v[16:17], v[0:3], off
	s_waitcnt lgkmcnt(2)
	global_store_dwordx4 v[18:19], v[4:7], off
	;; [unrolled: 2-line block ×3, first 2 shown]
	v_lshlrev_b64 v[20:21], 4, v[88:89]
	v_add_nc_u32_e32 v88, 0x320, v84
	ds_read_b128 v[0:3], v30 offset:7680
	ds_read_b128 v[4:7], v30 offset:10240
	;; [unrolled: 1-line block ×4, first 2 shown]
	v_add_co_u32 v22, vcc_lo, v31, v22
	v_lshlrev_b64 v[24:25], 4, v[88:89]
	v_add_nc_u32_e32 v88, 0x3c0, v84
	v_add_co_ci_u32_e32 v23, vcc_lo, v32, v23, vcc_lo
	v_add_co_u32 v20, vcc_lo, v31, v20
	v_lshlrev_b64 v[26:27], 4, v[88:89]
	v_add_nc_u32_e32 v88, 0x460, v84
	v_add_co_ci_u32_e32 v21, vcc_lo, v32, v21, vcc_lo
	v_add_co_u32 v24, vcc_lo, v31, v24
	v_add_co_ci_u32_e32 v25, vcc_lo, v32, v25, vcc_lo
	v_add_co_u32 v26, vcc_lo, v31, v26
	v_lshlrev_b64 v[28:29], 4, v[88:89]
	v_add_nc_u32_e32 v88, 0x500, v84
	v_add_co_ci_u32_e32 v27, vcc_lo, v32, v27, vcc_lo
	s_waitcnt lgkmcnt(3)
	global_store_dwordx4 v[22:23], v[0:3], off
	s_waitcnt lgkmcnt(2)
	global_store_dwordx4 v[20:21], v[4:7], off
	;; [unrolled: 2-line block ×4, first 2 shown]
	ds_read_b128 v[0:3], v30 offset:17920
	ds_read_b128 v[4:7], v30 offset:20480
	v_lshlrev_b64 v[20:21], 4, v[88:89]
	v_add_nc_u32_e32 v88, 0x5a0, v84
	ds_read_b128 v[8:11], v30 offset:23040
	ds_read_b128 v[16:19], v30 offset:25600
	v_add_co_u32 v22, vcc_lo, v31, v28
	v_add_co_ci_u32_e32 v23, vcc_lo, v32, v29, vcc_lo
	v_lshlrev_b64 v[24:25], 4, v[88:89]
	v_add_nc_u32_e32 v88, 0x640, v84
	v_add_co_u32 v20, vcc_lo, v31, v20
	v_add_co_ci_u32_e32 v21, vcc_lo, v32, v21, vcc_lo
	v_lshlrev_b64 v[26:27], 4, v[88:89]
	v_add_nc_u32_e32 v88, 0x6e0, v84
	v_add_co_u32 v24, vcc_lo, v31, v24
	v_add_co_ci_u32_e32 v25, vcc_lo, v32, v25, vcc_lo
	v_add_co_u32 v26, vcc_lo, v31, v26
	v_lshlrev_b64 v[28:29], 4, v[88:89]
	v_add_nc_u32_e32 v88, 0x780, v84
	v_add_co_ci_u32_e32 v27, vcc_lo, v32, v27, vcc_lo
	s_waitcnt lgkmcnt(3)
	global_store_dwordx4 v[22:23], v[0:3], off
	s_waitcnt lgkmcnt(2)
	global_store_dwordx4 v[20:21], v[4:7], off
	;; [unrolled: 2-line block ×4, first 2 shown]
	ds_read_b128 v[0:3], v30 offset:28160
	ds_read_b128 v[4:7], v30 offset:30720
	v_lshlrev_b64 v[20:21], 4, v[88:89]
	v_add_nc_u32_e32 v88, 0x820, v84
	ds_read_b128 v[8:11], v30 offset:33280
	ds_read_b128 v[16:19], v30 offset:35840
	v_add_co_u32 v22, vcc_lo, v31, v28
	v_add_co_ci_u32_e32 v23, vcc_lo, v32, v29, vcc_lo
	v_lshlrev_b64 v[24:25], 4, v[88:89]
	v_add_nc_u32_e32 v88, 0x8c0, v84
	v_add_co_u32 v20, vcc_lo, v31, v20
	v_add_co_ci_u32_e32 v21, vcc_lo, v32, v21, vcc_lo
	v_lshlrev_b64 v[26:27], 4, v[88:89]
	v_add_nc_u32_e32 v88, 0x960, v84
	;; [unrolled: 4-line block ×3, first 2 shown]
	v_add_co_u32 v26, vcc_lo, v31, v26
	v_add_co_ci_u32_e32 v27, vcc_lo, v32, v27, vcc_lo
	s_waitcnt lgkmcnt(3)
	global_store_dwordx4 v[22:23], v[0:3], off
	s_waitcnt lgkmcnt(2)
	global_store_dwordx4 v[20:21], v[4:7], off
	;; [unrolled: 2-line block ×4, first 2 shown]
	v_lshlrev_b64 v[20:21], 4, v[88:89]
	v_add_nc_u32_e32 v88, 0xaa0, v84
	ds_read_b128 v[0:3], v30 offset:38400
	ds_read_b128 v[4:7], v30 offset:40960
	;; [unrolled: 1-line block ×4, first 2 shown]
	v_add_co_u32 v22, vcc_lo, v31, v28
	v_lshlrev_b64 v[24:25], 4, v[88:89]
	v_add_nc_u32_e32 v88, 0xb40, v84
	v_add_co_ci_u32_e32 v23, vcc_lo, v32, v29, vcc_lo
	v_add_co_u32 v20, vcc_lo, v31, v20
	v_lshlrev_b64 v[26:27], 4, v[88:89]
	v_add_nc_u32_e32 v88, 0xbe0, v84
	v_add_co_ci_u32_e32 v21, vcc_lo, v32, v21, vcc_lo
	v_add_co_u32 v24, vcc_lo, v31, v24
	v_lshlrev_b64 v[28:29], 4, v[88:89]
	v_add_co_ci_u32_e32 v25, vcc_lo, v32, v25, vcc_lo
	v_add_co_u32 v26, vcc_lo, v31, v26
	v_add_co_ci_u32_e32 v27, vcc_lo, v32, v27, vcc_lo
	v_add_co_u32 v28, vcc_lo, v31, v28
	v_add_co_ci_u32_e32 v29, vcc_lo, v32, v29, vcc_lo
	s_waitcnt lgkmcnt(3)
	global_store_dwordx4 v[22:23], v[0:3], off
	s_waitcnt lgkmcnt(2)
	global_store_dwordx4 v[20:21], v[4:7], off
	;; [unrolled: 2-line block ×4, first 2 shown]
	global_store_dwordx4 v[28:29], v[12:15], off
.LBB0_19:
	s_endpgm
	.section	.rodata,"a",@progbits
	.p2align	6, 0x0
	.amdhsa_kernel fft_rtc_back_len3200_factors_10_10_4_4_2_wgs_160_tpt_160_halfLds_dp_ip_CI_unitstride_sbrr_C2R_dirReg
		.amdhsa_group_segment_fixed_size 0
		.amdhsa_private_segment_fixed_size 0
		.amdhsa_kernarg_size 88
		.amdhsa_user_sgpr_count 6
		.amdhsa_user_sgpr_private_segment_buffer 1
		.amdhsa_user_sgpr_dispatch_ptr 0
		.amdhsa_user_sgpr_queue_ptr 0
		.amdhsa_user_sgpr_kernarg_segment_ptr 1
		.amdhsa_user_sgpr_dispatch_id 0
		.amdhsa_user_sgpr_flat_scratch_init 0
		.amdhsa_user_sgpr_private_segment_size 0
		.amdhsa_wavefront_size32 1
		.amdhsa_uses_dynamic_stack 0
		.amdhsa_system_sgpr_private_segment_wavefront_offset 0
		.amdhsa_system_sgpr_workgroup_id_x 1
		.amdhsa_system_sgpr_workgroup_id_y 0
		.amdhsa_system_sgpr_workgroup_id_z 0
		.amdhsa_system_sgpr_workgroup_info 0
		.amdhsa_system_vgpr_workitem_id 0
		.amdhsa_next_free_vgpr 197
		.amdhsa_next_free_sgpr 22
		.amdhsa_reserve_vcc 1
		.amdhsa_reserve_flat_scratch 0
		.amdhsa_float_round_mode_32 0
		.amdhsa_float_round_mode_16_64 0
		.amdhsa_float_denorm_mode_32 3
		.amdhsa_float_denorm_mode_16_64 3
		.amdhsa_dx10_clamp 1
		.amdhsa_ieee_mode 1
		.amdhsa_fp16_overflow 0
		.amdhsa_workgroup_processor_mode 1
		.amdhsa_memory_ordered 1
		.amdhsa_forward_progress 0
		.amdhsa_shared_vgpr_count 0
		.amdhsa_exception_fp_ieee_invalid_op 0
		.amdhsa_exception_fp_denorm_src 0
		.amdhsa_exception_fp_ieee_div_zero 0
		.amdhsa_exception_fp_ieee_overflow 0
		.amdhsa_exception_fp_ieee_underflow 0
		.amdhsa_exception_fp_ieee_inexact 0
		.amdhsa_exception_int_div_zero 0
	.end_amdhsa_kernel
	.text
.Lfunc_end0:
	.size	fft_rtc_back_len3200_factors_10_10_4_4_2_wgs_160_tpt_160_halfLds_dp_ip_CI_unitstride_sbrr_C2R_dirReg, .Lfunc_end0-fft_rtc_back_len3200_factors_10_10_4_4_2_wgs_160_tpt_160_halfLds_dp_ip_CI_unitstride_sbrr_C2R_dirReg
                                        ; -- End function
	.section	.AMDGPU.csdata,"",@progbits
; Kernel info:
; codeLenInByte = 17204
; NumSgprs: 24
; NumVgprs: 197
; ScratchSize: 0
; MemoryBound: 0
; FloatMode: 240
; IeeeMode: 1
; LDSByteSize: 0 bytes/workgroup (compile time only)
; SGPRBlocks: 2
; VGPRBlocks: 24
; NumSGPRsForWavesPerEU: 24
; NumVGPRsForWavesPerEU: 197
; Occupancy: 4
; WaveLimiterHint : 1
; COMPUTE_PGM_RSRC2:SCRATCH_EN: 0
; COMPUTE_PGM_RSRC2:USER_SGPR: 6
; COMPUTE_PGM_RSRC2:TRAP_HANDLER: 0
; COMPUTE_PGM_RSRC2:TGID_X_EN: 1
; COMPUTE_PGM_RSRC2:TGID_Y_EN: 0
; COMPUTE_PGM_RSRC2:TGID_Z_EN: 0
; COMPUTE_PGM_RSRC2:TIDIG_COMP_CNT: 0
	.text
	.p2alignl 6, 3214868480
	.fill 48, 4, 3214868480
	.type	__hip_cuid_48b76c9394061d0e,@object ; @__hip_cuid_48b76c9394061d0e
	.section	.bss,"aw",@nobits
	.globl	__hip_cuid_48b76c9394061d0e
__hip_cuid_48b76c9394061d0e:
	.byte	0                               ; 0x0
	.size	__hip_cuid_48b76c9394061d0e, 1

	.ident	"AMD clang version 19.0.0git (https://github.com/RadeonOpenCompute/llvm-project roc-6.4.0 25133 c7fe45cf4b819c5991fe208aaa96edf142730f1d)"
	.section	".note.GNU-stack","",@progbits
	.addrsig
	.addrsig_sym __hip_cuid_48b76c9394061d0e
	.amdgpu_metadata
---
amdhsa.kernels:
  - .args:
      - .actual_access:  read_only
        .address_space:  global
        .offset:         0
        .size:           8
        .value_kind:     global_buffer
      - .offset:         8
        .size:           8
        .value_kind:     by_value
      - .actual_access:  read_only
        .address_space:  global
        .offset:         16
        .size:           8
        .value_kind:     global_buffer
      - .actual_access:  read_only
        .address_space:  global
        .offset:         24
        .size:           8
        .value_kind:     global_buffer
      - .offset:         32
        .size:           8
        .value_kind:     by_value
      - .actual_access:  read_only
        .address_space:  global
        .offset:         40
        .size:           8
        .value_kind:     global_buffer
      - .actual_access:  read_only
        .address_space:  global
        .offset:         48
        .size:           8
        .value_kind:     global_buffer
      - .offset:         56
        .size:           4
        .value_kind:     by_value
      - .actual_access:  read_only
        .address_space:  global
        .offset:         64
        .size:           8
        .value_kind:     global_buffer
      - .actual_access:  read_only
        .address_space:  global
        .offset:         72
        .size:           8
        .value_kind:     global_buffer
      - .address_space:  global
        .offset:         80
        .size:           8
        .value_kind:     global_buffer
    .group_segment_fixed_size: 0
    .kernarg_segment_align: 8
    .kernarg_segment_size: 88
    .language:       OpenCL C
    .language_version:
      - 2
      - 0
    .max_flat_workgroup_size: 160
    .name:           fft_rtc_back_len3200_factors_10_10_4_4_2_wgs_160_tpt_160_halfLds_dp_ip_CI_unitstride_sbrr_C2R_dirReg
    .private_segment_fixed_size: 0
    .sgpr_count:     24
    .sgpr_spill_count: 0
    .symbol:         fft_rtc_back_len3200_factors_10_10_4_4_2_wgs_160_tpt_160_halfLds_dp_ip_CI_unitstride_sbrr_C2R_dirReg.kd
    .uniform_work_group_size: 1
    .uses_dynamic_stack: false
    .vgpr_count:     197
    .vgpr_spill_count: 0
    .wavefront_size: 32
    .workgroup_processor_mode: 1
amdhsa.target:   amdgcn-amd-amdhsa--gfx1030
amdhsa.version:
  - 1
  - 2
...

	.end_amdgpu_metadata
